;; amdgpu-corpus repo=ROCm/rocFFT kind=compiled arch=gfx1201 opt=O3
	.text
	.amdgcn_target "amdgcn-amd-amdhsa--gfx1201"
	.amdhsa_code_object_version 6
	.protected	fft_rtc_fwd_len1248_factors_2_2_13_2_3_2_2_wgs_52_tpt_52_halfLds_dp_op_CI_CI_sbrr_dirReg ; -- Begin function fft_rtc_fwd_len1248_factors_2_2_13_2_3_2_2_wgs_52_tpt_52_halfLds_dp_op_CI_CI_sbrr_dirReg
	.globl	fft_rtc_fwd_len1248_factors_2_2_13_2_3_2_2_wgs_52_tpt_52_halfLds_dp_op_CI_CI_sbrr_dirReg
	.p2align	8
	.type	fft_rtc_fwd_len1248_factors_2_2_13_2_3_2_2_wgs_52_tpt_52_halfLds_dp_op_CI_CI_sbrr_dirReg,@function
fft_rtc_fwd_len1248_factors_2_2_13_2_3_2_2_wgs_52_tpt_52_halfLds_dp_op_CI_CI_sbrr_dirReg: ; @fft_rtc_fwd_len1248_factors_2_2_13_2_3_2_2_wgs_52_tpt_52_halfLds_dp_op_CI_CI_sbrr_dirReg
; %bb.0:
	s_clause 0x2
	s_load_b128 s[12:15], s[0:1], 0x18
	s_load_b128 s[8:11], s[0:1], 0x0
	;; [unrolled: 1-line block ×3, first 2 shown]
	v_mul_u32_u24_e32 v1, 0x4ed, v0
	v_mov_b32_e32 v4, 0
	v_mov_b32_e32 v5, 0
	s_wait_kmcnt 0x0
	s_load_b64 s[18:19], s[12:13], 0x0
	s_load_b64 s[16:17], s[14:15], 0x0
	v_lshrrev_b32_e32 v2, 16, v1
	v_mov_b32_e32 v1, 0
	v_cmp_lt_u64_e64 s2, s[10:11], 2
	s_delay_alu instid0(VALU_DEP_2) | instskip(NEXT) | instid1(VALU_DEP_2)
	v_dual_mov_b32 v7, v1 :: v_dual_add_nc_u32 v6, ttmp9, v2
	s_and_b32 vcc_lo, exec_lo, s2
	s_cbranch_vccnz .LBB0_8
; %bb.1:
	s_load_b64 s[2:3], s[0:1], 0x10
	v_mov_b32_e32 v4, 0
	v_mov_b32_e32 v5, 0
	s_add_nc_u64 s[20:21], s[14:15], 8
	s_add_nc_u64 s[22:23], s[12:13], 8
	s_mov_b64 s[24:25], 1
	s_delay_alu instid0(VALU_DEP_1)
	v_dual_mov_b32 v147, v5 :: v_dual_mov_b32 v146, v4
	s_wait_kmcnt 0x0
	s_add_nc_u64 s[26:27], s[2:3], 8
	s_mov_b32 s3, 0
.LBB0_2:                                ; =>This Inner Loop Header: Depth=1
	s_load_b64 s[28:29], s[26:27], 0x0
                                        ; implicit-def: $vgpr148_vgpr149
	s_mov_b32 s2, exec_lo
	s_wait_kmcnt 0x0
	v_or_b32_e32 v2, s29, v7
	s_delay_alu instid0(VALU_DEP_1)
	v_cmpx_ne_u64_e32 0, v[1:2]
	s_wait_alu 0xfffe
	s_xor_b32 s30, exec_lo, s2
	s_cbranch_execz .LBB0_4
; %bb.3:                                ;   in Loop: Header=BB0_2 Depth=1
	s_cvt_f32_u32 s2, s28
	s_cvt_f32_u32 s31, s29
	s_sub_nc_u64 s[36:37], 0, s[28:29]
	s_wait_alu 0xfffe
	s_delay_alu instid0(SALU_CYCLE_1) | instskip(SKIP_1) | instid1(SALU_CYCLE_2)
	s_fmamk_f32 s2, s31, 0x4f800000, s2
	s_wait_alu 0xfffe
	v_s_rcp_f32 s2, s2
	s_delay_alu instid0(TRANS32_DEP_1) | instskip(SKIP_1) | instid1(SALU_CYCLE_2)
	s_mul_f32 s2, s2, 0x5f7ffffc
	s_wait_alu 0xfffe
	s_mul_f32 s31, s2, 0x2f800000
	s_wait_alu 0xfffe
	s_delay_alu instid0(SALU_CYCLE_2) | instskip(SKIP_1) | instid1(SALU_CYCLE_2)
	s_trunc_f32 s31, s31
	s_wait_alu 0xfffe
	s_fmamk_f32 s2, s31, 0xcf800000, s2
	s_cvt_u32_f32 s35, s31
	s_wait_alu 0xfffe
	s_delay_alu instid0(SALU_CYCLE_1) | instskip(SKIP_1) | instid1(SALU_CYCLE_2)
	s_cvt_u32_f32 s34, s2
	s_wait_alu 0xfffe
	s_mul_u64 s[38:39], s[36:37], s[34:35]
	s_wait_alu 0xfffe
	s_mul_hi_u32 s41, s34, s39
	s_mul_i32 s40, s34, s39
	s_mul_hi_u32 s2, s34, s38
	s_mul_i32 s33, s35, s38
	s_wait_alu 0xfffe
	s_add_nc_u64 s[40:41], s[2:3], s[40:41]
	s_mul_hi_u32 s31, s35, s38
	s_mul_hi_u32 s42, s35, s39
	s_add_co_u32 s2, s40, s33
	s_wait_alu 0xfffe
	s_add_co_ci_u32 s2, s41, s31
	s_mul_i32 s38, s35, s39
	s_add_co_ci_u32 s39, s42, 0
	s_wait_alu 0xfffe
	s_add_nc_u64 s[38:39], s[2:3], s[38:39]
	s_wait_alu 0xfffe
	v_add_co_u32 v2, s2, s34, s38
	s_delay_alu instid0(VALU_DEP_1) | instskip(SKIP_1) | instid1(VALU_DEP_1)
	s_cmp_lg_u32 s2, 0
	s_add_co_ci_u32 s35, s35, s39
	v_readfirstlane_b32 s34, v2
	s_wait_alu 0xfffe
	s_delay_alu instid0(VALU_DEP_1)
	s_mul_u64 s[36:37], s[36:37], s[34:35]
	s_wait_alu 0xfffe
	s_mul_hi_u32 s39, s34, s37
	s_mul_i32 s38, s34, s37
	s_mul_hi_u32 s2, s34, s36
	s_mul_i32 s33, s35, s36
	s_wait_alu 0xfffe
	s_add_nc_u64 s[38:39], s[2:3], s[38:39]
	s_mul_hi_u32 s31, s35, s36
	s_mul_hi_u32 s34, s35, s37
	s_wait_alu 0xfffe
	s_add_co_u32 s2, s38, s33
	s_add_co_ci_u32 s2, s39, s31
	s_mul_i32 s36, s35, s37
	s_add_co_ci_u32 s37, s34, 0
	s_wait_alu 0xfffe
	s_add_nc_u64 s[36:37], s[2:3], s[36:37]
	s_wait_alu 0xfffe
	v_add_co_u32 v8, s2, v2, s36
	s_delay_alu instid0(VALU_DEP_1) | instskip(SKIP_1) | instid1(VALU_DEP_1)
	s_cmp_lg_u32 s2, 0
	s_add_co_ci_u32 s2, s35, s37
	v_mul_hi_u32 v12, v6, v8
	s_wait_alu 0xfffe
	v_mad_co_u64_u32 v[2:3], null, v6, s2, 0
	v_mad_co_u64_u32 v[8:9], null, v7, v8, 0
	;; [unrolled: 1-line block ×3, first 2 shown]
	s_delay_alu instid0(VALU_DEP_3) | instskip(SKIP_1) | instid1(VALU_DEP_4)
	v_add_co_u32 v2, vcc_lo, v12, v2
	s_wait_alu 0xfffd
	v_add_co_ci_u32_e32 v3, vcc_lo, 0, v3, vcc_lo
	s_delay_alu instid0(VALU_DEP_2) | instskip(SKIP_1) | instid1(VALU_DEP_2)
	v_add_co_u32 v2, vcc_lo, v2, v8
	s_wait_alu 0xfffd
	v_add_co_ci_u32_e32 v2, vcc_lo, v3, v9, vcc_lo
	s_wait_alu 0xfffd
	v_add_co_ci_u32_e32 v3, vcc_lo, 0, v11, vcc_lo
	s_delay_alu instid0(VALU_DEP_2) | instskip(SKIP_1) | instid1(VALU_DEP_2)
	v_add_co_u32 v8, vcc_lo, v2, v10
	s_wait_alu 0xfffd
	v_add_co_ci_u32_e32 v9, vcc_lo, 0, v3, vcc_lo
	s_delay_alu instid0(VALU_DEP_2) | instskip(SKIP_1) | instid1(VALU_DEP_3)
	v_mul_lo_u32 v10, s29, v8
	v_mad_co_u64_u32 v[2:3], null, s28, v8, 0
	v_mul_lo_u32 v11, s28, v9
	s_delay_alu instid0(VALU_DEP_2) | instskip(NEXT) | instid1(VALU_DEP_2)
	v_sub_co_u32 v2, vcc_lo, v6, v2
	v_add3_u32 v3, v3, v11, v10
	s_delay_alu instid0(VALU_DEP_1) | instskip(SKIP_1) | instid1(VALU_DEP_1)
	v_sub_nc_u32_e32 v10, v7, v3
	s_wait_alu 0xfffd
	v_subrev_co_ci_u32_e64 v10, s2, s29, v10, vcc_lo
	v_add_co_u32 v11, s2, v8, 2
	s_wait_alu 0xf1ff
	v_add_co_ci_u32_e64 v12, s2, 0, v9, s2
	v_sub_co_u32 v13, s2, v2, s28
	v_sub_co_ci_u32_e32 v3, vcc_lo, v7, v3, vcc_lo
	s_wait_alu 0xf1ff
	v_subrev_co_ci_u32_e64 v10, s2, 0, v10, s2
	s_delay_alu instid0(VALU_DEP_3) | instskip(NEXT) | instid1(VALU_DEP_3)
	v_cmp_le_u32_e32 vcc_lo, s28, v13
	v_cmp_eq_u32_e64 s2, s29, v3
	s_wait_alu 0xfffd
	v_cndmask_b32_e64 v13, 0, -1, vcc_lo
	v_cmp_le_u32_e32 vcc_lo, s29, v10
	s_wait_alu 0xfffd
	v_cndmask_b32_e64 v14, 0, -1, vcc_lo
	v_cmp_le_u32_e32 vcc_lo, s28, v2
	;; [unrolled: 3-line block ×3, first 2 shown]
	s_wait_alu 0xfffd
	v_cndmask_b32_e64 v15, 0, -1, vcc_lo
	v_cmp_eq_u32_e32 vcc_lo, s29, v10
	s_wait_alu 0xf1ff
	s_delay_alu instid0(VALU_DEP_2)
	v_cndmask_b32_e64 v2, v15, v2, s2
	s_wait_alu 0xfffd
	v_cndmask_b32_e32 v10, v14, v13, vcc_lo
	v_add_co_u32 v13, vcc_lo, v8, 1
	s_wait_alu 0xfffd
	v_add_co_ci_u32_e32 v14, vcc_lo, 0, v9, vcc_lo
	s_delay_alu instid0(VALU_DEP_3) | instskip(SKIP_1) | instid1(VALU_DEP_2)
	v_cmp_ne_u32_e32 vcc_lo, 0, v10
	s_wait_alu 0xfffd
	v_dual_cndmask_b32 v3, v14, v12 :: v_dual_cndmask_b32 v10, v13, v11
	v_cmp_ne_u32_e32 vcc_lo, 0, v2
	s_wait_alu 0xfffd
	s_delay_alu instid0(VALU_DEP_2)
	v_dual_cndmask_b32 v149, v9, v3 :: v_dual_cndmask_b32 v148, v8, v10
.LBB0_4:                                ;   in Loop: Header=BB0_2 Depth=1
	s_wait_alu 0xfffe
	s_and_not1_saveexec_b32 s2, s30
	s_cbranch_execz .LBB0_6
; %bb.5:                                ;   in Loop: Header=BB0_2 Depth=1
	v_cvt_f32_u32_e32 v2, s28
	s_sub_co_i32 s30, 0, s28
	v_mov_b32_e32 v149, v1
	s_delay_alu instid0(VALU_DEP_2) | instskip(NEXT) | instid1(TRANS32_DEP_1)
	v_rcp_iflag_f32_e32 v2, v2
	v_mul_f32_e32 v2, 0x4f7ffffe, v2
	s_delay_alu instid0(VALU_DEP_1) | instskip(SKIP_1) | instid1(VALU_DEP_1)
	v_cvt_u32_f32_e32 v2, v2
	s_wait_alu 0xfffe
	v_mul_lo_u32 v3, s30, v2
	s_delay_alu instid0(VALU_DEP_1) | instskip(NEXT) | instid1(VALU_DEP_1)
	v_mul_hi_u32 v3, v2, v3
	v_add_nc_u32_e32 v2, v2, v3
	s_delay_alu instid0(VALU_DEP_1) | instskip(NEXT) | instid1(VALU_DEP_1)
	v_mul_hi_u32 v2, v6, v2
	v_mul_lo_u32 v3, v2, s28
	v_add_nc_u32_e32 v8, 1, v2
	s_delay_alu instid0(VALU_DEP_2) | instskip(NEXT) | instid1(VALU_DEP_1)
	v_sub_nc_u32_e32 v3, v6, v3
	v_subrev_nc_u32_e32 v9, s28, v3
	v_cmp_le_u32_e32 vcc_lo, s28, v3
	s_wait_alu 0xfffd
	s_delay_alu instid0(VALU_DEP_2) | instskip(NEXT) | instid1(VALU_DEP_1)
	v_dual_cndmask_b32 v3, v3, v9 :: v_dual_cndmask_b32 v2, v2, v8
	v_cmp_le_u32_e32 vcc_lo, s28, v3
	s_delay_alu instid0(VALU_DEP_2) | instskip(SKIP_1) | instid1(VALU_DEP_1)
	v_add_nc_u32_e32 v8, 1, v2
	s_wait_alu 0xfffd
	v_cndmask_b32_e32 v148, v2, v8, vcc_lo
.LBB0_6:                                ;   in Loop: Header=BB0_2 Depth=1
	s_wait_alu 0xfffe
	s_or_b32 exec_lo, exec_lo, s2
	v_mul_lo_u32 v8, v149, s28
	s_delay_alu instid0(VALU_DEP_2)
	v_mul_lo_u32 v9, v148, s29
	s_load_b64 s[30:31], s[22:23], 0x0
	v_mad_co_u64_u32 v[2:3], null, v148, s28, 0
	s_load_b64 s[28:29], s[20:21], 0x0
	s_add_nc_u64 s[24:25], s[24:25], 1
	s_add_nc_u64 s[20:21], s[20:21], 8
	s_wait_alu 0xfffe
	v_cmp_ge_u64_e64 s2, s[24:25], s[10:11]
	s_add_nc_u64 s[22:23], s[22:23], 8
	s_add_nc_u64 s[26:27], s[26:27], 8
	v_add3_u32 v3, v3, v9, v8
	v_sub_co_u32 v2, vcc_lo, v6, v2
	s_wait_alu 0xfffd
	s_delay_alu instid0(VALU_DEP_2) | instskip(SKIP_2) | instid1(VALU_DEP_1)
	v_sub_co_ci_u32_e32 v3, vcc_lo, v7, v3, vcc_lo
	s_and_b32 vcc_lo, exec_lo, s2
	s_wait_kmcnt 0x0
	v_mul_lo_u32 v6, s30, v3
	v_mul_lo_u32 v7, s31, v2
	v_mad_co_u64_u32 v[4:5], null, s30, v2, v[4:5]
	v_mul_lo_u32 v3, s28, v3
	v_mul_lo_u32 v8, s29, v2
	v_mad_co_u64_u32 v[146:147], null, s28, v2, v[146:147]
	s_delay_alu instid0(VALU_DEP_4) | instskip(NEXT) | instid1(VALU_DEP_2)
	v_add3_u32 v5, v7, v5, v6
	v_add3_u32 v147, v8, v147, v3
	s_wait_alu 0xfffe
	s_cbranch_vccnz .LBB0_9
; %bb.7:                                ;   in Loop: Header=BB0_2 Depth=1
	v_dual_mov_b32 v6, v148 :: v_dual_mov_b32 v7, v149
	s_branch .LBB0_2
.LBB0_8:
	v_dual_mov_b32 v147, v5 :: v_dual_mov_b32 v146, v4
	s_delay_alu instid0(VALU_DEP_2)
	v_dual_mov_b32 v149, v7 :: v_dual_mov_b32 v148, v6
.LBB0_9:
	s_load_b64 s[0:1], s[0:1], 0x28
	v_mul_hi_u32 v1, 0x4ec4ec5, v0
	s_lshl_b64 s[10:11], s[10:11], 3
                                        ; implicit-def: $vgpr144
                                        ; implicit-def: $vgpr159
                                        ; implicit-def: $vgpr161
                                        ; implicit-def: $vgpr163
                                        ; implicit-def: $vgpr165
                                        ; implicit-def: $vgpr167
                                        ; implicit-def: $vgpr150
                                        ; implicit-def: $vgpr153
                                        ; implicit-def: $vgpr158
                                        ; implicit-def: $vgpr151
                                        ; implicit-def: $vgpr155
                                        ; implicit-def: $vgpr157
	s_wait_kmcnt 0x0
	v_cmp_gt_u64_e32 vcc_lo, s[0:1], v[148:149]
	v_cmp_le_u64_e64 s0, s[0:1], v[148:149]
	s_delay_alu instid0(VALU_DEP_1)
	s_and_saveexec_b32 s1, s0
	s_wait_alu 0xfffe
	s_xor_b32 s0, exec_lo, s1
	s_cbranch_execz .LBB0_11
; %bb.10:
	v_mul_u32_u24_e32 v1, 52, v1
                                        ; implicit-def: $vgpr4_vgpr5
	s_delay_alu instid0(VALU_DEP_1) | instskip(NEXT) | instid1(VALU_DEP_1)
	v_sub_nc_u32_e32 v144, v0, v1
                                        ; implicit-def: $vgpr1
                                        ; implicit-def: $vgpr0
	v_add_nc_u32_e32 v159, 52, v144
	v_add_nc_u32_e32 v161, 0x68, v144
	v_add_nc_u32_e32 v163, 0x9c, v144
	v_add_nc_u32_e32 v165, 0xd0, v144
	v_add_nc_u32_e32 v167, 0x104, v144
	v_add_nc_u32_e32 v150, 0x138, v144
	v_add_nc_u32_e32 v153, 0x16c, v144
	v_add_nc_u32_e32 v158, 0x1a0, v144
	v_add_nc_u32_e32 v151, 0x1d4, v144
	v_add_nc_u32_e32 v155, 0x208, v144
	v_add_nc_u32_e32 v157, 0x23c, v144
.LBB0_11:
	s_wait_alu 0xfffe
	s_or_saveexec_b32 s1, s0
	s_add_nc_u64 s[2:3], s[14:15], s[10:11]
                                        ; implicit-def: $vgpr62_vgpr63
                                        ; implicit-def: $vgpr22_vgpr23
                                        ; implicit-def: $vgpr58_vgpr59
                                        ; implicit-def: $vgpr26_vgpr27
                                        ; implicit-def: $vgpr66_vgpr67
                                        ; implicit-def: $vgpr30_vgpr31
                                        ; implicit-def: $vgpr70_vgpr71
                                        ; implicit-def: $vgpr34_vgpr35
                                        ; implicit-def: $vgpr74_vgpr75
                                        ; implicit-def: $vgpr38_vgpr39
                                        ; implicit-def: $vgpr82_vgpr83
                                        ; implicit-def: $vgpr42_vgpr43
                                        ; implicit-def: $vgpr86_vgpr87
                                        ; implicit-def: $vgpr46_vgpr47
                                        ; implicit-def: $vgpr90_vgpr91
                                        ; implicit-def: $vgpr50_vgpr51
                                        ; implicit-def: $vgpr94_vgpr95
                                        ; implicit-def: $vgpr54_vgpr55
                                        ; implicit-def: $vgpr78_vgpr79
                                        ; implicit-def: $vgpr18_vgpr19
                                        ; implicit-def: $vgpr10_vgpr11
                                        ; implicit-def: $vgpr2_vgpr3
                                        ; implicit-def: $vgpr14_vgpr15
                                        ; implicit-def: $vgpr6_vgpr7
	s_wait_alu 0xfffe
	s_xor_b32 exec_lo, exec_lo, s1
	s_cbranch_execz .LBB0_13
; %bb.12:
	s_add_nc_u64 s[10:11], s[12:13], s[10:11]
	v_mul_u32_u24_e32 v1, 52, v1
	s_load_b64 s[10:11], s[10:11], 0x0
	s_delay_alu instid0(VALU_DEP_1) | instskip(SKIP_1) | instid1(VALU_DEP_2)
	v_sub_nc_u32_e32 v144, v0, v1
	v_lshlrev_b64_e32 v[0:1], 4, v[4:5]
	v_add_nc_u32_e32 v163, 0x9c, v144
	v_add_nc_u32_e32 v14, 0x270, v144
	v_mad_co_u64_u32 v[2:3], null, s18, v144, 0
	v_add_nc_u32_e32 v15, 0x2a4, v144
	s_delay_alu instid0(VALU_DEP_4) | instskip(SKIP_2) | instid1(VALU_DEP_4)
	v_mad_co_u64_u32 v[24:25], null, s18, v163, 0
	v_add_nc_u32_e32 v161, 0x68, v144
	v_mad_co_u64_u32 v[4:5], null, s18, v14, 0
	v_mad_co_u64_u32 v[10:11], null, s18, v15, 0
	s_delay_alu instid0(VALU_DEP_3)
	v_mad_co_u64_u32 v[16:17], null, s18, v161, 0
	v_add_nc_u32_e32 v159, 52, v144
	s_wait_kmcnt 0x0
	v_mul_lo_u32 v18, s11, v148
	v_mul_lo_u32 v19, s10, v149
	v_mad_co_u64_u32 v[8:9], null, s10, v148, 0
	v_mad_co_u64_u32 v[6:7], null, s18, v159, 0
	;; [unrolled: 1-line block ×3, first 2 shown]
	v_dual_mov_b32 v3, v5 :: v_dual_add_nc_u32 v30, 0x30c, v144
	s_delay_alu instid0(VALU_DEP_4) | instskip(NEXT) | instid1(VALU_DEP_4)
	v_add3_u32 v9, v9, v19, v18
	v_dual_mov_b32 v5, v7 :: v_dual_add_nc_u32 v38, 0x374, v144
	v_mov_b32_e32 v7, v11
	s_delay_alu instid0(VALU_DEP_4) | instskip(NEXT) | instid1(VALU_DEP_4)
	v_mad_co_u64_u32 v[13:14], null, s19, v14, v[3:4]
	v_lshlrev_b64_e32 v[8:9], 4, v[8:9]
	v_mov_b32_e32 v3, v12
	v_mad_co_u64_u32 v[11:12], null, s19, v159, v[5:6]
	v_add_nc_u32_e32 v12, 0x2d8, v144
	v_add_nc_u32_e32 v150, 0x138, v144
	v_mad_co_u64_u32 v[14:15], null, s19, v15, v[7:8]
	v_add_co_u32 v7, s0, s4, v8
	s_wait_alu 0xf1ff
	v_add_co_ci_u32_e64 v8, s0, s5, v9, s0
	v_mov_b32_e32 v5, v13
	s_delay_alu instid0(VALU_DEP_3)
	v_add_co_u32 v20, s0, v7, v0
	v_dual_mov_b32 v7, v11 :: v_dual_add_nc_u32 v42, 0x3a8, v144
	v_lshlrev_b64_e32 v[2:3], 4, v[2:3]
	v_mad_co_u64_u32 v[18:19], null, s18, v12, 0
	s_wait_alu 0xf1ff
	v_add_co_ci_u32_e64 v21, s0, v8, v1, s0
	v_lshlrev_b64_e32 v[0:1], 4, v[4:5]
	v_lshlrev_b64_e32 v[5:6], 4, v[6:7]
	v_dual_mov_b32 v11, v14 :: v_dual_add_nc_u32 v44, 0x3dc, v144
	v_mov_b32_e32 v4, v17
	v_add_co_u32 v2, s0, v20, v2
	s_wait_alu 0xf1ff
	v_add_co_ci_u32_e64 v3, s0, v21, v3, s0
	v_add_co_u32 v0, s0, v20, v0
	v_lshlrev_b64_e32 v[7:8], 4, v[10:11]
	v_mad_co_u64_u32 v[9:10], null, s19, v161, v[4:5]
	v_mov_b32_e32 v4, v19
	s_wait_alu 0xf1ff
	v_add_co_ci_u32_e64 v1, s0, v21, v1, s0
	v_add_co_u32 v10, s0, v20, v5
	s_wait_alu 0xf1ff
	v_add_co_ci_u32_e64 v11, s0, v21, v6, s0
	v_mad_co_u64_u32 v[26:27], null, s19, v12, v[4:5]
	v_add_co_u32 v22, s0, v20, v7
	s_wait_alu 0xf1ff
	v_add_co_ci_u32_e64 v23, s0, v21, v8, s0
	v_dual_mov_b32 v17, v9 :: v_dual_add_nc_u32 v158, 0x1a0, v144
	s_clause 0x3
	global_load_b128 v[4:7], v[2:3], off
	global_load_b128 v[12:15], v[0:1], off
	;; [unrolled: 1-line block ×4, first 2 shown]
	v_dual_mov_b32 v22, v25 :: v_dual_mov_b32 v19, v26
	v_mad_co_u64_u32 v[26:27], null, s18, v30, 0
	v_lshlrev_b64_e32 v[16:17], 4, v[16:17]
	s_delay_alu instid0(VALU_DEP_3)
	v_mad_co_u64_u32 v[22:23], null, s19, v163, v[22:23]
	v_add_nc_u32_e32 v165, 0xd0, v144
	v_lshlrev_b64_e32 v[18:19], 4, v[18:19]
	v_or_b32_e32 v34, 0x340, v144
	v_mov_b32_e32 v23, v27
	v_add_co_u32 v16, s0, v20, v16
	v_dual_mov_b32 v25, v22 :: v_dual_add_nc_u32 v48, 0x478, v144
	v_mad_co_u64_u32 v[28:29], null, s18, v165, 0
	s_wait_alu 0xf1ff
	v_add_co_ci_u32_e64 v17, s0, v21, v17, s0
	v_mad_co_u64_u32 v[22:23], null, s19, v30, v[23:24]
	v_add_co_u32 v30, s0, v20, v18
	s_wait_alu 0xf1ff
	v_add_co_ci_u32_e64 v31, s0, v21, v19, s0
	v_lshlrev_b64_e32 v[18:19], 4, v[24:25]
	v_mad_co_u64_u32 v[24:25], null, s18, v34, 0
	v_mov_b32_e32 v23, v29
	v_mov_b32_e32 v27, v22
	v_add_nc_u32_e32 v167, 0x104, v144
	v_add_co_u32 v32, s0, v20, v18
	s_wait_alu 0xf1ff
	v_add_co_ci_u32_e64 v33, s0, v21, v19, s0
	v_mad_co_u64_u32 v[22:23], null, s19, v165, v[23:24]
	v_mov_b32_e32 v23, v25
	v_lshlrev_b64_e32 v[18:19], 4, v[26:27]
	v_mad_co_u64_u32 v[26:27], null, s18, v167, 0
	v_add_nc_u32_e32 v153, 0x16c, v144
	v_add_nc_u32_e32 v151, 0x1d4, v144
	v_mov_b32_e32 v29, v22
	v_mad_co_u64_u32 v[22:23], null, s19, v34, v[23:24]
	v_add_co_u32 v34, s0, v20, v18
	s_wait_alu 0xf1ff
	v_add_co_ci_u32_e64 v35, s0, v21, v19, s0
	v_lshlrev_b64_e32 v[18:19], 4, v[28:29]
	v_mov_b32_e32 v23, v27
	v_mov_b32_e32 v25, v22
	v_mad_co_u64_u32 v[28:29], null, s18, v38, 0
	v_add_nc_u32_e32 v155, 0x208, v144
	v_add_co_u32 v36, s0, v20, v18
	v_mad_co_u64_u32 v[22:23], null, s19, v167, v[23:24]
	s_wait_alu 0xf1ff
	v_add_co_ci_u32_e64 v37, s0, v21, v19, s0
	v_lshlrev_b64_e32 v[18:19], 4, v[24:25]
	v_mad_co_u64_u32 v[24:25], null, s18, v150, 0
	v_mov_b32_e32 v23, v29
	v_mov_b32_e32 v27, v22
	v_add_nc_u32_e32 v157, 0x23c, v144
	v_add_nc_u32_e32 v49, 0x4ac, v144
	s_delay_alu instid0(VALU_DEP_4)
	v_mad_co_u64_u32 v[22:23], null, s19, v38, v[23:24]
	v_add_co_u32 v38, s0, v20, v18
	v_mov_b32_e32 v23, v25
	s_wait_alu 0xf1ff
	v_add_co_ci_u32_e64 v39, s0, v21, v19, s0
	v_lshlrev_b64_e32 v[18:19], 4, v[26:27]
	v_mad_co_u64_u32 v[26:27], null, s18, v42, 0
	v_mov_b32_e32 v29, v22
	v_mad_co_u64_u32 v[22:23], null, s19, v150, v[23:24]
	s_delay_alu instid0(VALU_DEP_4)
	v_add_co_u32 v40, s0, v20, v18
	s_wait_alu 0xf1ff
	v_add_co_ci_u32_e64 v41, s0, v21, v19, s0
	v_lshlrev_b64_e32 v[18:19], 4, v[28:29]
	v_mov_b32_e32 v23, v27
	v_mov_b32_e32 v25, v22
	v_mad_co_u64_u32 v[28:29], null, s18, v153, 0
	v_mad_co_u64_u32 v[46:47], null, s18, v49, 0
	s_delay_alu instid0(VALU_DEP_4)
	v_mad_co_u64_u32 v[22:23], null, s19, v42, v[23:24]
	v_add_co_u32 v42, s0, v20, v18
	s_wait_alu 0xf1ff
	v_add_co_ci_u32_e64 v43, s0, v21, v19, s0
	v_lshlrev_b64_e32 v[18:19], 4, v[24:25]
	v_mad_co_u64_u32 v[24:25], null, s18, v44, 0
	v_mov_b32_e32 v23, v29
	v_mov_b32_e32 v27, v22
	s_delay_alu instid0(VALU_DEP_4)
	v_add_co_u32 v56, s0, v20, v18
	s_wait_alu 0xf1ff
	v_add_co_ci_u32_e64 v57, s0, v21, v19, s0
	v_mad_co_u64_u32 v[22:23], null, s19, v153, v[23:24]
	v_mov_b32_e32 v23, v25
	v_lshlrev_b64_e32 v[18:19], 4, v[26:27]
	v_mad_co_u64_u32 v[26:27], null, s18, v158, 0
	s_delay_alu instid0(VALU_DEP_4) | instskip(NEXT) | instid1(VALU_DEP_4)
	v_mov_b32_e32 v29, v22
	v_mad_co_u64_u32 v[22:23], null, s19, v44, v[23:24]
	s_delay_alu instid0(VALU_DEP_4)
	v_add_co_u32 v58, s0, v20, v18
	v_add_nc_u32_e32 v44, 0x410, v144
	s_wait_alu 0xf1ff
	v_add_co_ci_u32_e64 v59, s0, v21, v19, s0
	v_lshlrev_b64_e32 v[18:19], 4, v[28:29]
	v_mov_b32_e32 v23, v27
	v_mov_b32_e32 v25, v22
	v_mad_co_u64_u32 v[28:29], null, s18, v44, 0
	s_delay_alu instid0(VALU_DEP_4) | instskip(NEXT) | instid1(VALU_DEP_4)
	v_add_co_u32 v60, s0, v20, v18
	v_mad_co_u64_u32 v[22:23], null, s19, v158, v[23:24]
	s_wait_alu 0xf1ff
	v_add_co_ci_u32_e64 v61, s0, v21, v19, s0
	v_lshlrev_b64_e32 v[18:19], 4, v[24:25]
	v_mad_co_u64_u32 v[24:25], null, s18, v151, 0
	v_mov_b32_e32 v23, v29
	v_mov_b32_e32 v27, v22
	s_delay_alu instid0(VALU_DEP_4)
	v_add_co_u32 v62, s0, v20, v18
	s_wait_alu 0xf1ff
	v_add_co_ci_u32_e64 v63, s0, v21, v19, s0
	v_mad_co_u64_u32 v[22:23], null, s19, v44, v[23:24]
	v_dual_mov_b32 v23, v25 :: v_dual_add_nc_u32 v44, 0x444, v144
	v_lshlrev_b64_e32 v[18:19], 4, v[26:27]
	s_delay_alu instid0(VALU_DEP_2) | instskip(NEXT) | instid1(VALU_DEP_4)
	v_mad_co_u64_u32 v[26:27], null, s18, v44, 0
	v_mov_b32_e32 v29, v22
	s_delay_alu instid0(VALU_DEP_4) | instskip(NEXT) | instid1(VALU_DEP_4)
	v_mad_co_u64_u32 v[22:23], null, s19, v151, v[23:24]
	v_add_co_u32 v64, s0, v20, v18
	s_wait_alu 0xf1ff
	v_add_co_ci_u32_e64 v65, s0, v21, v19, s0
	v_mov_b32_e32 v23, v27
	v_lshlrev_b64_e32 v[18:19], 4, v[28:29]
	v_mad_co_u64_u32 v[28:29], null, s18, v155, 0
	v_mov_b32_e32 v25, v22
	s_delay_alu instid0(VALU_DEP_4) | instskip(NEXT) | instid1(VALU_DEP_4)
	v_mad_co_u64_u32 v[22:23], null, s19, v44, v[23:24]
	v_add_co_u32 v66, s0, v20, v18
	s_delay_alu instid0(VALU_DEP_3)
	v_lshlrev_b64_e32 v[23:24], 4, v[24:25]
	v_mov_b32_e32 v18, v29
	v_mad_co_u64_u32 v[44:45], null, s18, v48, 0
	s_wait_alu 0xf1ff
	v_add_co_ci_u32_e64 v67, s0, v21, v19, s0
	v_mov_b32_e32 v27, v22
	v_add_co_u32 v22, s0, v20, v23
	v_mad_co_u64_u32 v[18:19], null, s19, v155, v[18:19]
	s_wait_alu 0xf1ff
	v_add_co_ci_u32_e64 v23, s0, v21, v24, s0
	v_mad_co_u64_u32 v[24:25], null, s18, v157, 0
	v_mov_b32_e32 v19, v45
	v_lshlrev_b64_e32 v[26:27], 4, v[26:27]
	v_mov_b32_e32 v29, v18
	s_delay_alu instid0(VALU_DEP_3) | instskip(SKIP_1) | instid1(VALU_DEP_4)
	v_mad_co_u64_u32 v[18:19], null, s19, v48, v[19:20]
	v_mov_b32_e32 v19, v25
	v_add_co_u32 v26, s0, v20, v26
	v_mov_b32_e32 v25, v47
	v_lshlrev_b64_e32 v[28:29], 4, v[28:29]
	s_delay_alu instid0(VALU_DEP_4) | instskip(SKIP_1) | instid1(VALU_DEP_4)
	v_mad_co_u64_u32 v[47:48], null, s19, v157, v[19:20]
	v_mov_b32_e32 v45, v18
	v_mad_co_u64_u32 v[48:49], null, s19, v49, v[25:26]
	s_clause 0x1
	global_load_b128 v[16:19], v[16:17], off
	global_load_b128 v[76:79], v[30:31], off
	s_wait_alu 0xf1ff
	v_add_co_ci_u32_e64 v27, s0, v21, v27, s0
	v_mov_b32_e32 v25, v47
	v_lshlrev_b64_e32 v[30:31], 4, v[44:45]
	v_add_co_u32 v96, s0, v20, v28
	v_mov_b32_e32 v47, v48
	s_delay_alu instid0(VALU_DEP_4)
	v_lshlrev_b64_e32 v[24:25], 4, v[24:25]
	s_wait_alu 0xf1ff
	v_add_co_ci_u32_e64 v97, s0, v21, v29, s0
	v_add_co_u32 v98, s0, v20, v30
	v_lshlrev_b64_e32 v[28:29], 4, v[46:47]
	s_wait_alu 0xf1ff
	v_add_co_ci_u32_e64 v99, s0, v21, v31, s0
	v_add_co_u32 v100, s0, v20, v24
	s_wait_alu 0xf1ff
	v_add_co_ci_u32_e64 v101, s0, v21, v25, s0
	v_add_co_u32 v102, s0, v20, v28
	s_wait_alu 0xf1ff
	v_add_co_ci_u32_e64 v103, s0, v21, v29, s0
	s_clause 0x11
	global_load_b128 v[52:55], v[32:33], off
	global_load_b128 v[92:95], v[34:35], off
	;; [unrolled: 1-line block ×18, first 2 shown]
.LBB0_13:
	s_or_b32 exec_lo, exec_lo, s1
	s_wait_loadcnt 0x16
	v_add_f64_e64 v[98:99], v[4:5], -v[12:13]
	s_wait_loadcnt 0x12
	v_add_f64_e64 v[106:107], v[16:17], -v[76:77]
	v_add_f64_e64 v[102:103], v[0:1], -v[8:9]
	s_wait_loadcnt 0x0
	v_add_f64_e64 v[142:143], v[20:21], -v[60:61]
	v_add_f64_e64 v[110:111], v[52:53], -v[92:93]
	;; [unrolled: 1-line block ×18, first 2 shown]
	v_lshl_add_u32 v84, v144, 4, 0
	v_lshl_add_u32 v156, v153, 4, 0
	;; [unrolled: 1-line block ×3, first 2 shown]
	v_lshlrev_b32_e32 v14, 3, v153
	v_lshlrev_b32_e32 v15, 3, v158
	v_lshl_add_u32 v85, v159, 4, 0
	v_lshl_add_u32 v88, v161, 4, 0
	;; [unrolled: 1-line block ×9, first 2 shown]
	s_load_b64 s[2:3], s[2:3], 0x0
	v_lshl_add_u32 v197, v144, 3, 0
	v_lshl_add_u32 v198, v159, 3, 0
	v_fma_f64 v[96:97], v[4:5], 2.0, -v[98:99]
	v_fma_f64 v[104:105], v[16:17], 2.0, -v[106:107]
	v_add_f64_e64 v[16:17], v[18:19], -v[78:79]
	v_fma_f64 v[100:101], v[0:1], 2.0, -v[102:103]
	v_fma_f64 v[140:141], v[20:21], 2.0, -v[142:143]
	v_add_f64_e64 v[20:21], v[54:55], -v[94:95]
	v_fma_f64 v[108:109], v[52:53], 2.0, -v[110:111]
	v_add_f64_e64 v[52:53], v[50:51], -v[90:91]
	v_fma_f64 v[112:113], v[48:49], 2.0, -v[114:115]
	v_fma_f64 v[116:117], v[44:45], 2.0, -v[118:119]
	;; [unrolled: 1-line block ×15, first 2 shown]
	v_lshlrev_b32_e32 v0, 3, v163
	v_lshlrev_b32_e32 v1, 3, v165
	;; [unrolled: 1-line block ×7, first 2 shown]
	v_lshl_add_u32 v199, v161, 3, 0
	v_add_nc_u32_e32 v24, 0x1400, v197
	v_add_nc_u32_e32 v25, 0x2000, v197
	v_lshlrev_b32_e32 v170, 1, v144
	v_cmp_gt_u32_e64 s0, 44, v144
	ds_store_b128 v84, v[96:99]
	ds_store_b128 v85, v[100:103]
	;; [unrolled: 1-line block ×12, first 2 shown]
	v_sub_nc_u32_e32 v121, v156, v14
	v_sub_nc_u32_e32 v123, v154, v15
	v_fma_f64 v[14:15], v[18:19], 2.0, -v[16:17]
	v_fma_f64 v[18:19], v[54:55], 2.0, -v[20:21]
	;; [unrolled: 1-line block ×4, first 2 shown]
	v_and_b32_e32 v126, 1, v144
	v_sub_nc_u32_e32 v122, v166, v0
	global_wb scope:SCOPE_SE
	s_wait_dscnt 0x0
	s_wait_kmcnt 0x0
	s_barrier_signal -1
	s_barrier_wait -1
	global_inv scope:SCOPE_SE
	v_sub_nc_u32_e32 v118, v164, v1
	scratch_store_b32 off, v28, off offset:8 ; 4-byte Folded Spill
	v_add_nc_u32_e32 v124, 0x1000, v197
	v_add_nc_u32_e32 v125, 0x1800, v197
	v_sub_nc_u32_e32 v119, v162, v4
	v_sub_nc_u32_e32 v120, v160, v5
	;; [unrolled: 1-line block ×5, first 2 shown]
	ds_load_b64 v[4:5], v197
	ds_load_b64 v[26:27], v198
	;; [unrolled: 1-line block ×12, first 2 shown]
	ds_load_2addr_b64 v[44:47], v124 offset0:112 offset1:164
	ds_load_2addr_b64 v[40:43], v24 offset0:88 offset1:140
	;; [unrolled: 1-line block ×6, first 2 shown]
	global_wb scope:SCOPE_SE
	s_wait_storecnt_dscnt 0x0
	s_barrier_signal -1
	s_barrier_wait -1
	global_inv scope:SCOPE_SE
	v_add_nc_u32_e32 v127, 0x400, v197
	v_add_nc_u32_e32 v128, 0x800, v197
	ds_store_b128 v84, v[6:9]
	ds_store_b128 v85, v[10:13]
	ds_store_b128 v88, v[14:17]
	ds_store_b128 v166, v[18:21]
	ds_store_b128 v164, v[50:53]
	ds_store_b128 v162, v[54:57]
	ds_store_b128 v160, v[58:61]
	ds_store_b128 v156, v[62:65]
	v_lshlrev_b32_e32 v6, 4, v126
	ds_store_b128 v154, v[66:69]
	ds_store_b128 v209, v[70:73]
	;; [unrolled: 1-line block ×4, first 2 shown]
	global_wb scope:SCOPE_SE
	s_wait_dscnt 0x0
	s_barrier_signal -1
	s_barrier_wait -1
	global_inv scope:SCOPE_SE
	global_load_b128 v[52:55], v6, s[8:9]
	ds_load_2addr_b64 v[76:79], v124 offset0:112 offset1:164
	ds_load_2addr_b64 v[96:99], v24 offset0:88 offset1:140
	;; [unrolled: 1-line block ×6, first 2 shown]
	v_lshlrev_b32_e32 v75, 1, v159
	v_lshlrev_b32_e32 v74, 1, v161
	s_delay_alu instid0(VALU_DEP_1) | instskip(NEXT) | instid1(VALU_DEP_1)
	v_and_or_b32 v131, 0x1fc, v74, v126
	v_lshl_add_u32 v131, v131, 3, 0
	s_wait_loadcnt_dscnt 0x5
	v_mul_f64_e32 v[6:7], v[76:77], v[54:55]
	v_mul_f64_e32 v[8:9], v[78:79], v[54:55]
	s_wait_dscnt 0x4
	v_mul_f64_e32 v[10:11], v[96:97], v[54:55]
	v_mul_f64_e32 v[12:13], v[98:99], v[54:55]
	s_wait_dscnt 0x3
	;; [unrolled: 3-line block ×5, first 2 shown]
	v_mul_f64_e32 v[56:57], v[80:81], v[54:55]
	v_mul_f64_e32 v[58:59], v[82:83], v[54:55]
	v_fma_f64 v[6:7], v[44:45], v[52:53], -v[6:7]
	v_fma_f64 v[8:9], v[46:47], v[52:53], -v[8:9]
	;; [unrolled: 1-line block ×12, first 2 shown]
	v_add_f64_e64 v[62:63], v[4:5], -v[6:7]
	v_add_f64_e64 v[64:65], v[26:27], -v[8:9]
	;; [unrolled: 1-line block ×8, first 2 shown]
	v_mov_b32_e32 v20, v151
	v_add_f64_e64 v[6:7], v[110:111], -v[60:61]
	v_add_f64_e64 v[10:11], v[112:113], -v[50:51]
	;; [unrolled: 1-line block ×4, first 2 shown]
	v_lshlrev_b32_e32 v50, 1, v157
	v_and_or_b32 v51, 0x7c, v170, v126
	v_and_or_b32 v56, 0xfc, v75, v126
	scratch_store_b64 off, v[20:21], off    ; 8-byte Folded Spill
	v_lshlrev_b32_e32 v20, 1, v151
	v_and_or_b32 v140, 0x4fc, v50, v126
	v_lshl_add_u32 v129, v51, 3, 0
	v_lshlrev_b32_e32 v21, 1, v155
	v_lshl_add_u32 v130, v56, 3, 0
	v_lshlrev_b32_e32 v8, 1, v163
	v_lshlrev_b32_e32 v9, 1, v165
	;; [unrolled: 1-line block ×6, first 2 shown]
	v_and_or_b32 v138, 0x7fc, v20, v126
	v_and_or_b32 v139, 0x4fc, v21, v126
	;; [unrolled: 1-line block ×8, first 2 shown]
	v_lshl_add_u32 v132, v132, 3, 0
	v_lshl_add_u32 v133, v133, 3, 0
	v_fma_f64 v[50:51], v[4:5], 2.0, -v[62:63]
	v_fma_f64 v[26:27], v[26:27], 2.0, -v[64:65]
	;; [unrolled: 1-line block ×8, first 2 shown]
	v_add_nc_u32_e32 v126, 0x1c00, v197
	v_fma_f64 v[4:5], v[110:111], 2.0, -v[6:7]
	v_fma_f64 v[8:9], v[112:113], 2.0, -v[10:11]
	;; [unrolled: 1-line block ×4, first 2 shown]
	ds_load_b64 v[100:101], v118
	ds_load_b64 v[102:103], v119
	;; [unrolled: 1-line block ×12, first 2 shown]
	v_lshl_add_u32 v134, v134, 3, 0
	v_lshl_add_u32 v135, v135, 3, 0
	;; [unrolled: 1-line block ×7, first 2 shown]
	global_wb scope:SCOPE_SE
	s_wait_storecnt_dscnt 0x0
	s_barrier_signal -1
	s_barrier_wait -1
	global_inv scope:SCOPE_SE
	ds_store_2addr_b64 v129, v[50:51], v[62:63] offset1:2
	ds_store_2addr_b64 v130, v[26:27], v[64:65] offset1:2
	;; [unrolled: 1-line block ×12, first 2 shown]
	global_wb scope:SCOPE_SE
	s_wait_dscnt 0x0
	s_barrier_signal -1
	s_barrier_wait -1
	global_inv scope:SCOPE_SE
	ds_load_b64 v[179:180], v197 offset:9216
	ds_load_2addr_b64 v[48:51], v197 offset1:96
	ds_load_2addr_b64 v[72:75], v127 offset0:64 offset1:160
	ds_load_2addr_b64 v[68:71], v128 offset0:128 offset1:224
	;; [unrolled: 1-line block ×3, first 2 shown]
	ds_load_2addr_b64 v[56:59], v125 offset1:96
	ds_load_2addr_b64 v[64:67], v126 offset0:64 offset1:160
                                        ; implicit-def: $vgpr26_vgpr27
	s_and_saveexec_b32 s1, s0
	s_cbranch_execz .LBB0_15
; %bb.14:
	ds_load_b64 v[173:174], v198
	ds_load_2addr_b64 v[20:23], v197 offset0:148 offset1:244
	ds_load_2addr_b64 v[4:7], v128 offset0:84 offset1:180
	;; [unrolled: 1-line block ×6, first 2 shown]
.LBB0_15:
	s_wait_alu 0xfffe
	s_or_b32 exec_lo, exec_lo, s1
	v_mul_f64_e32 v[44:45], v[44:45], v[54:55]
	v_mul_f64_e32 v[46:47], v[46:47], v[54:55]
	;; [unrolled: 1-line block ×12, first 2 shown]
	global_wb scope:SCOPE_SE
	s_wait_dscnt 0x0
	s_barrier_signal -1
	s_barrier_wait -1
	global_inv scope:SCOPE_SE
	v_fma_f64 v[44:45], v[76:77], v[52:53], v[44:45]
	v_fma_f64 v[46:47], v[78:79], v[52:53], v[46:47]
	;; [unrolled: 1-line block ×12, first 2 shown]
	v_add_f64_e64 v[52:53], v[118:119], -v[44:45]
	v_add_f64_e64 v[76:77], v[120:121], -v[46:47]
	;; [unrolled: 1-line block ×12, first 2 shown]
	v_fma_f64 v[0:1], v[118:119], 2.0, -v[52:53]
	v_fma_f64 v[2:3], v[120:121], 2.0, -v[76:77]
	;; [unrolled: 1-line block ×12, first 2 shown]
	ds_store_2addr_b64 v129, v[0:1], v[52:53] offset1:2
	ds_store_2addr_b64 v130, v[2:3], v[76:77] offset1:2
	;; [unrolled: 1-line block ×12, first 2 shown]
	global_wb scope:SCOPE_SE
	s_wait_dscnt 0x0
	s_barrier_signal -1
	s_barrier_wait -1
	global_inv scope:SCOPE_SE
	ds_load_2addr_b64 v[0:3], v197 offset1:96
	ds_load_2addr_b64 v[132:135], v127 offset0:64 offset1:160
	ds_load_2addr_b64 v[100:103], v128 offset0:128 offset1:224
	;; [unrolled: 1-line block ×3, first 2 shown]
	ds_load_2addr_b64 v[104:107], v125 offset1:96
	ds_load_2addr_b64 v[136:139], v126 offset0:64 offset1:160
	ds_load_b64 v[181:182], v197 offset:9216
                                        ; implicit-def: $vgpr54_vgpr55
	s_and_saveexec_b32 s1, s0
	s_cbranch_execz .LBB0_17
; %bb.16:
	v_add_nc_u32_e32 v32, 0x800, v197
	v_add_nc_u32_e32 v33, 0x1000, v197
	;; [unrolled: 1-line block ×5, first 2 shown]
	ds_load_b64 v[171:172], v198
	ds_load_2addr_b64 v[28:31], v197 offset0:148 offset1:244
	ds_load_2addr_b64 v[44:47], v32 offset0:84 offset1:180
	;; [unrolled: 1-line block ×6, first 2 shown]
.LBB0_17:
	s_wait_alu 0xfffe
	s_or_b32 exec_lo, exec_lo, s1
	v_and_b32_e32 v145, 3, v144
	s_mov_b32 s46, 0x4267c47c
	s_mov_b32 s34, 0x42a4c3d2
	s_mov_b32 s40, 0x66966769
	s_mov_b32 s22, 0x2ef20147
	v_mul_u32_u24_e32 v76, 12, v145
	s_mov_b32 s26, 0x24c2f84
	s_mov_b32 s28, 0x4bc48dbf
	;; [unrolled: 1-line block ×4, first 2 shown]
	v_lshlrev_b32_e32 v124, 4, v76
	s_mov_b32 s41, 0xbfefc445
	s_mov_b32 s23, 0xbfedeba7
	;; [unrolled: 1-line block ×4, first 2 shown]
	s_clause 0xb
	global_load_b128 v[140:143], v124, s[8:9] offset:32
	global_load_b128 v[96:99], v124, s[8:9] offset:48
	;; [unrolled: 1-line block ×12, first 2 shown]
	s_mov_b32 s4, 0xe00740e9
	s_mov_b32 s12, 0x1ea71119
	;; [unrolled: 1-line block ×22, first 2 shown]
	s_wait_alu 0xfffe
	s_mov_b32 s38, s28
	s_mov_b32 s36, s34
	s_wait_loadcnt_dscnt 0xb06
	v_mul_f64_e32 v[175:176], v[2:3], v[142:143]
	s_wait_loadcnt_dscnt 0xa05
	v_mul_f64_e32 v[177:178], v[132:133], v[98:99]
	s_wait_loadcnt 0x9
	v_mul_f64_e32 v[183:184], v[179:180], v[78:79]
	v_mul_f64_e32 v[185:186], v[50:51], v[142:143]
	s_wait_loadcnt 0x8
	v_mul_f64_e32 v[187:188], v[134:135], v[94:95]
	;; [unrolled: 3-line block ×3, first 2 shown]
	s_wait_dscnt 0x0
	v_mul_f64_e32 v[195:196], v[181:182], v[78:79]
	s_wait_loadcnt 0x6
	v_mul_f64_e32 v[210:211], v[100:101], v[114:115]
	v_mul_f64_e32 v[212:213], v[138:139], v[86:87]
	s_wait_loadcnt 0x2
	v_mul_f64_e32 v[214:215], v[58:59], v[122:123]
	s_wait_loadcnt 0x1
	;; [unrolled: 2-line block ×3, first 2 shown]
	v_mul_f64_e32 v[224:225], v[56:57], v[126:127]
	v_mul_f64_e32 v[226:227], v[106:107], v[122:123]
	;; [unrolled: 1-line block ×4, first 2 shown]
	v_fma_f64 v[151:152], v[50:51], v[140:141], -v[175:176]
	v_fma_f64 v[168:169], v[72:73], v[96:97], -v[177:178]
	v_fma_f64 v[50:51], v[181:182], v[76:77], v[183:184]
	v_fma_f64 v[72:73], v[2:3], v[140:141], v[185:186]
	v_fma_f64 v[2:3], v[74:75], v[92:93], -v[187:188]
	v_mul_f64_e32 v[183:184], v[74:75], v[94:95]
	v_mul_f64_e32 v[187:188], v[102:103], v[110:111]
	v_fma_f64 v[185:186], v[132:133], v[96:97], v[191:192]
	v_fma_f64 v[74:75], v[138:139], v[84:85], v[193:194]
	v_fma_f64 v[195:196], v[179:180], v[76:77], -v[195:196]
	v_fma_f64 v[179:180], v[68:69], v[112:113], -v[210:211]
	v_mul_f64_e32 v[68:69], v[68:69], v[114:115]
	v_mul_f64_e32 v[210:211], v[80:81], v[118:119]
	;; [unrolled: 1-line block ×3, first 2 shown]
	v_fma_f64 v[193:194], v[66:67], v[84:85], -v[212:213]
	v_fma_f64 v[82:83], v[82:83], v[128:129], v[250:251]
	v_add_f64_e32 v[189:190], v[48:49], v[151:152]
	s_clause 0x2
	scratch_store_b64 off, v[151:152], off offset:12
	scratch_store_b64 off, v[50:51], off offset:20
	scratch_store_b64 off, v[168:169], off offset:28
	v_add_f64_e64 v[138:139], v[72:73], -v[50:51]
	v_fma_f64 v[183:184], v[134:135], v[92:93], v[183:184]
	v_fma_f64 v[134:135], v[70:71], v[108:109], -v[187:188]
	v_mul_f64_e32 v[70:71], v[70:71], v[110:111]
	v_add_f64_e64 v[66:67], v[185:186], -v[74:75]
	v_add_f64_e32 v[187:188], v[151:152], v[195:196]
	v_mul_f64_e32 v[151:152], v[28:29], v[142:143]
	v_mul_f64_e32 v[142:143], v[20:21], v[142:143]
	v_fma_f64 v[191:192], v[64:65], v[88:89], -v[191:192]
	v_add_f64_e32 v[181:182], v[189:190], v[168:169]
	v_mul_f64_e32 v[189:190], v[64:65], v[90:91]
	v_mul_f64_e32 v[212:213], s[46:47], v[138:139]
	;; [unrolled: 1-line block ×9, first 2 shown]
	v_add_f64_e32 v[181:182], v[181:182], v[2:3]
	v_fma_f64 v[132:133], v[136:137], v[88:89], v[189:190]
	v_mul_f64_e32 v[189:190], s[34:35], v[138:139]
	v_mul_f64_e32 v[138:139], s[28:29], v[138:139]
	v_fma_f64 v[238:239], v[187:188], s[10:11], -v[216:217]
	v_fma_f64 v[216:217], v[187:188], s[10:11], v[216:217]
	v_fma_f64 v[242:243], v[187:188], s[14:15], -v[218:219]
	v_fma_f64 v[218:219], v[187:188], s[14:15], v[218:219]
	;; [unrolled: 2-line block ×3, first 2 shown]
	v_add_f64_e32 v[136:137], v[181:182], v[179:180]
	v_fma_f64 v[181:182], v[100:101], v[112:113], v[68:69]
	v_fma_f64 v[100:101], v[106:107], v[120:121], v[214:215]
	v_add_f64_e64 v[64:65], v[183:184], -v[132:133]
	v_fma_f64 v[106:107], v[60:61], v[116:117], -v[210:211]
	v_add_f64_e32 v[68:69], v[168:169], v[193:194]
	v_mul_f64_e32 v[210:211], s[34:35], v[66:67]
	v_fma_f64 v[214:215], v[187:188], s[4:5], -v[212:213]
	v_fma_f64 v[232:233], v[187:188], s[12:13], -v[189:190]
	v_fma_f64 v[234:235], v[187:188], s[12:13], v[189:190]
	v_mul_f64_e32 v[66:67], s[30:31], v[66:67]
	v_fma_f64 v[248:249], v[187:188], s[20:21], -v[138:139]
	v_fma_f64 v[252:253], v[187:188], s[20:21], v[138:139]
	v_fma_f64 v[212:213], v[187:188], s[4:5], v[212:213]
	v_mul_f64_e32 v[60:61], v[60:61], v[118:119]
	v_fma_f64 v[138:139], v[104:105], v[124:125], v[224:225]
	v_fma_f64 v[189:190], v[58:59], v[120:121], -v[226:227]
	v_add_f64_e32 v[58:59], v[2:3], v[191:192]
	v_add_f64_e32 v[238:239], v[48:49], v[238:239]
	;; [unrolled: 1-line block ×7, first 2 shown]
	v_fma_f64 v[187:188], v[56:57], v[124:125], -v[254:255]
	v_add_f64_e32 v[228:229], v[136:137], v[134:135]
	v_fma_f64 v[136:137], v[102:103], v[108:109], v[70:71]
	v_fma_f64 v[102:103], v[62:63], v[128:129], -v[222:223]
	v_add_f64_e64 v[62:63], v[181:182], -v[100:101]
	v_mul_f64_e32 v[70:71], s[40:41], v[64:65]
	v_mul_f64_e32 v[222:223], s[28:29], v[64:65]
	v_fma_f64 v[224:225], v[68:69], s[12:13], -v[210:211]
	v_add_f64_e32 v[214:215], v[48:49], v[214:215]
	v_fma_f64 v[201:202], v[68:69], s[14:15], -v[230:231]
	v_add_f64_e32 v[232:233], v[48:49], v[232:233]
	v_fma_f64 v[230:231], v[68:69], s[14:15], v[230:231]
	v_add_f64_e32 v[234:235], v[48:49], v[234:235]
	v_fma_f64 v[203:204], v[68:69], s[20:21], -v[236:237]
	v_fma_f64 v[236:237], v[68:69], s[20:21], v[236:237]
	v_mul_f64_e32 v[205:206], s[30:31], v[64:65]
	v_fma_f64 v[207:208], v[68:69], s[18:19], -v[240:241]
	v_fma_f64 v[240:241], v[68:69], s[18:19], v[240:241]
	v_mul_f64_e32 v[175:176], s[34:35], v[64:65]
	v_fma_f64 v[50:51], v[68:69], s[10:11], -v[244:245]
	v_fma_f64 v[244:245], v[68:69], s[10:11], v[244:245]
	v_fma_f64 v[177:178], v[68:69], s[4:5], -v[66:67]
	v_add_f64_e32 v[248:249], v[48:49], v[248:249]
	v_fma_f64 v[66:67], v[68:69], s[4:5], v[66:67]
	v_add_f64_e32 v[252:253], v[48:49], v[252:253]
	v_fma_f64 v[68:69], v[68:69], s[12:13], v[210:211]
	;; [unrolled: 2-line block ×3, first 2 shown]
	v_add_f64_e32 v[56:57], v[179:180], v[189:190]
	v_add_f64_e32 v[254:255], v[134:135], v[187:188]
	;; [unrolled: 1-line block ×3, first 2 shown]
	v_mul_f64_e32 v[228:229], s[44:45], v[64:65]
	v_mul_f64_e32 v[64:65], s[26:27], v[64:65]
	v_add_f64_e64 v[60:61], v[136:137], -v[138:139]
	v_mul_f64_e32 v[250:251], s[22:23], v[62:63]
	v_mul_f64_e32 v[80:81], s[42:43], v[62:63]
	v_fma_f64 v[210:211], v[58:59], s[10:11], -v[70:71]
	v_add_f64_e32 v[212:213], v[224:225], v[214:215]
	v_mul_f64_e32 v[224:225], s[30:31], v[62:63]
	v_add_f64_e32 v[201:202], v[201:202], v[232:233]
	v_add_f64_e32 v[230:231], v[230:231], v[234:235]
	;; [unrolled: 1-line block ×4, first 2 shown]
	v_mul_f64_e32 v[234:235], s[40:41], v[62:63]
	v_fma_f64 v[236:237], v[58:59], s[4:5], -v[205:206]
	v_add_f64_e32 v[207:208], v[207:208], v[242:243]
	v_fma_f64 v[205:206], v[58:59], s[4:5], v[205:206]
	v_add_f64_e32 v[218:219], v[240:241], v[218:219]
	s_wait_alu 0xfffe
	v_mul_f64_e32 v[238:239], s[38:39], v[62:63]
	v_fma_f64 v[240:241], v[58:59], s[12:13], -v[175:176]
	v_mul_f64_e32 v[62:63], s[36:37], v[62:63]
	v_fma_f64 v[175:176], v[58:59], s[12:13], v[175:176]
	v_add_f64_e32 v[220:221], v[244:245], v[220:221]
	v_add_f64_e32 v[177:178], v[177:178], v[248:249]
	;; [unrolled: 1-line block ×5, first 2 shown]
	v_mul_f64_e32 v[244:245], v[30:31], v[98:99]
	v_add_f64_e64 v[246:247], v[104:105], -v[82:83]
	v_mul_f64_e32 v[98:99], v[22:23], v[98:99]
	v_mul_f64_e32 v[248:249], v[44:45], v[94:95]
	v_mul_f64_e32 v[94:95], v[4:5], v[94:95]
	v_mul_f64_e32 v[252:253], v[46:47], v[114:115]
	v_mul_f64_e32 v[114:115], v[6:7], v[114:115]
	v_add_f64_e32 v[214:215], v[226:227], v[102:103]
	v_fma_f64 v[226:227], v[58:59], s[20:21], -v[222:223]
	v_fma_f64 v[222:223], v[58:59], s[20:21], v[222:223]
	v_fma_f64 v[232:233], v[58:59], s[14:15], -v[228:229]
	v_fma_f64 v[228:229], v[58:59], s[14:15], v[228:229]
	;; [unrolled: 2-line block ×3, first 2 shown]
	v_fma_f64 v[58:59], v[58:59], s[10:11], v[70:71]
	v_mul_f64_e32 v[168:169], s[26:27], v[60:61]
	v_fma_f64 v[68:69], v[56:57], s[14:15], -v[250:251]
	v_add_f64_e32 v[70:71], v[210:211], v[212:213]
	v_mul_f64_e32 v[212:213], s[24:25], v[60:61]
	v_add_f64_e32 v[207:208], v[236:237], v[207:208]
	v_add_f64_e32 v[205:206], v[205:206], v[218:219]
	v_mul_f64_e32 v[218:219], s[30:31], v[60:61]
	v_fma_f64 v[236:237], v[56:57], s[20:21], -v[238:239]
	v_fma_f64 v[238:239], v[56:57], s[20:21], v[238:239]
	v_add_f64_e32 v[175:176], v[175:176], v[220:221]
	v_fma_f64 v[220:221], v[56:57], s[12:13], -v[62:63]
	v_add_f64_e32 v[240:241], v[240:241], v[50:51]
	v_fma_f64 v[50:51], v[20:21], v[140:141], -v[151:152]
	v_add_f64_e32 v[20:21], v[106:107], v[102:103]
	v_add_f64_e32 v[210:211], v[214:215], v[187:188]
	v_fma_f64 v[214:215], v[56:57], s[18:19], -v[80:81]
	v_add_f64_e32 v[201:202], v[226:227], v[201:202]
	v_fma_f64 v[226:227], v[56:57], s[18:19], v[80:81]
	v_add_f64_e32 v[222:223], v[222:223], v[230:231]
	v_fma_f64 v[230:231], v[56:57], s[4:5], -v[224:225]
	v_add_f64_e32 v[203:204], v[232:233], v[203:204]
	v_mul_f64_e32 v[232:233], s[34:35], v[60:61]
	v_fma_f64 v[224:225], v[56:57], s[4:5], v[224:225]
	v_add_f64_e32 v[216:217], v[228:229], v[216:217]
	v_mul_f64_e32 v[228:229], s[38:39], v[60:61]
	v_fma_f64 v[80:81], v[56:57], s[10:11], -v[234:235]
	v_fma_f64 v[234:235], v[56:57], s[10:11], v[234:235]
	v_mul_f64_e32 v[60:61], s[22:23], v[60:61]
	v_add_f64_e32 v[177:178], v[242:243], v[177:178]
	v_fma_f64 v[242:243], v[56:57], s[12:13], v[62:63]
	v_add_f64_e32 v[64:65], v[64:65], v[66:67]
	v_fma_f64 v[56:57], v[56:57], s[14:15], v[250:251]
	v_add_f64_e32 v[48:49], v[58:59], v[48:49]
	v_mul_f64_e32 v[66:67], s[28:29], v[246:247]
	v_fma_f64 v[62:63], v[28:29], v[140:141], v[142:143]
	v_mul_f64_e32 v[28:29], s[30:31], v[246:247]
	v_mul_f64_e32 v[140:141], s[26:27], v[246:247]
	;; [unrolled: 1-line block ×4, first 2 shown]
	v_add_f64_e32 v[68:69], v[68:69], v[70:71]
	v_mul_f64_e32 v[246:247], s[24:25], v[246:247]
	v_add_f64_e32 v[175:176], v[238:239], v[175:176]
	v_fma_f64 v[70:71], v[22:23], v[96:97], -v[244:245]
	v_fma_f64 v[22:23], v[254:255], s[18:19], v[168:169]
	v_add_f64_e32 v[151:152], v[210:211], v[189:190]
	v_mul_f64_e32 v[210:211], v[40:41], v[110:111]
	v_add_f64_e32 v[201:202], v[214:215], v[201:202]
	v_fma_f64 v[214:215], v[254:255], s[18:19], -v[168:169]
	v_add_f64_e32 v[222:223], v[226:227], v[222:223]
	v_fma_f64 v[226:227], v[254:255], s[10:11], -v[212:213]
	v_add_f64_e32 v[203:204], v[230:231], v[203:204]
	v_fma_f64 v[212:213], v[254:255], s[10:11], v[212:213]
	v_fma_f64 v[230:231], v[254:255], s[12:13], v[232:233]
	v_add_f64_e32 v[216:217], v[224:225], v[216:217]
	v_fma_f64 v[224:225], v[254:255], s[12:13], -v[232:233]
	v_add_f64_e32 v[80:81], v[80:81], v[207:208]
	v_fma_f64 v[207:208], v[254:255], s[20:21], -v[228:229]
	v_add_f64_e32 v[205:206], v[234:235], v[205:206]
	v_fma_f64 v[228:229], v[254:255], s[20:21], v[228:229]
	v_fma_f64 v[238:239], v[254:255], s[14:15], -v[60:61]
	v_fma_f64 v[60:61], v[254:255], s[14:15], v[60:61]
	v_add_f64_e32 v[64:65], v[242:243], v[64:65]
	v_add_f64_e32 v[48:49], v[56:57], v[48:49]
	;; [unrolled: 1-line block ×3, first 2 shown]
	v_fma_f64 v[236:237], v[254:255], s[4:5], -v[218:219]
	v_fma_f64 v[218:219], v[254:255], s[4:5], v[218:219]
	v_add_f64_e32 v[177:178], v[220:221], v[177:178]
	v_fma_f64 v[168:169], v[20:21], s[20:21], -v[66:67]
	v_fma_f64 v[220:221], v[20:21], s[20:21], v[66:67]
	v_fma_f64 v[240:241], v[20:21], s[4:5], -v[28:29]
	v_fma_f64 v[242:243], v[20:21], s[4:5], v[28:29]
	;; [unrolled: 2-line block ×5, first 2 shown]
	v_mul_f64_e32 v[110:111], v[8:9], v[110:111]
	v_mul_f64_e32 v[232:233], v[42:43], v[118:119]
	;; [unrolled: 1-line block ×3, first 2 shown]
	v_fma_f64 v[66:67], v[30:31], v[96:97], v[98:99]
	v_fma_f64 v[56:57], v[46:47], v[112:113], v[114:115]
	v_add_f64_e32 v[58:59], v[151:152], v[191:192]
	v_fma_f64 v[151:152], v[20:21], s[10:11], -v[246:247]
	v_fma_f64 v[20:21], v[20:21], s[10:11], v[246:247]
	v_add_f64_e32 v[214:215], v[214:215], v[68:69]
	v_fma_f64 v[68:69], v[4:5], v[92:93], -v[248:249]
	v_lshrrev_b32_e32 v4, 2, v144
	v_add_f64_e32 v[201:202], v[226:227], v[201:202]
	v_mul_f64_e32 v[246:247], v[36:37], v[130:131]
	v_mul_f64_e32 v[130:131], v[12:13], v[130:131]
	v_add_f64_e32 v[216:217], v[230:231], v[216:217]
	v_add_f64_e32 v[203:204], v[224:225], v[203:204]
	v_mul_f64_e32 v[224:225], v[32:33], v[122:123]
	v_add_f64_e32 v[207:208], v[207:208], v[80:81]
	v_mul_f64_e32 v[80:81], v[16:17], v[122:123]
	;; [unrolled: 2-line block ×3, first 2 shown]
	v_mul_u32_u24_e32 v4, 52, v4
	v_add_f64_e32 v[228:229], v[60:61], v[64:65]
	v_add_f64_e32 v[22:23], v[22:23], v[48:49]
	v_mul_f64_e32 v[90:91], v[18:19], v[90:91]
	v_add_f64_e32 v[226:227], v[236:237], v[234:235]
	v_mul_f64_e32 v[230:231], v[54:55], v[78:79]
	v_mul_f64_e32 v[236:237], v[26:27], v[78:79]
	v_add_f64_e32 v[212:213], v[212:213], v[222:223]
	v_mul_f64_e32 v[222:223], v[38:39], v[126:127]
	;; [unrolled: 3-line block ×3, first 2 shown]
	v_mul_f64_e32 v[86:87], v[24:25], v[86:87]
	v_add_f64_e32 v[177:178], v[238:239], v[177:178]
	v_lshlrev_b32_e32 v5, 3, v163
	v_fma_f64 v[64:65], v[44:45], v[92:93], v[94:95]
	v_fma_f64 v[46:47], v[8:9], v[108:109], -v[210:211]
	v_fma_f64 v[44:45], v[40:41], v[108:109], v[110:111]
	v_fma_f64 v[40:41], v[10:11], v[116:117], -v[232:233]
	v_fma_f64 v[30:31], v[42:43], v[116:117], v[118:119]
	v_add_f64_e32 v[234:235], v[58:59], v[193:194]
	v_fma_f64 v[58:59], v[6:7], v[112:113], -v[252:253]
	v_fma_f64 v[42:43], v[12:13], v[128:129], -v[246:247]
	v_fma_f64 v[36:37], v[36:37], v[128:129], v[130:131]
	v_sub_nc_u32_e32 v12, 0, v5
	v_lshlrev_b32_e32 v5, 3, v165
	v_fma_f64 v[60:61], v[16:17], v[120:121], -v[224:225]
	v_add_f64_e32 v[94:95], v[140:141], v[216:217]
	v_fma_f64 v[32:33], v[32:33], v[120:121], v[80:81]
	v_fma_f64 v[78:79], v[18:19], v[88:89], -v[205:206]
	v_sub_nc_u32_e32 v11, 0, v5
	v_add_f64_e32 v[19:20], v[20:21], v[228:229]
	v_add_f64_e32 v[21:22], v[220:221], v[22:23]
	v_or_b32_e32 v23, v4, v145
	scratch_load_b32 v4, off, off offset:8 th:TH_LOAD_LU ; 4-byte Folded Reload
	v_fma_f64 v[80:81], v[34:35], v[88:89], v[90:91]
	v_add_f64_e32 v[90:91], v[254:255], v[226:227]
	v_add_f64_e32 v[88:89], v[142:143], v[122:123]
	v_fma_f64 v[48:49], v[14:15], v[124:125], -v[222:223]
	v_fma_f64 v[38:39], v[38:39], v[124:125], v[126:127]
	v_add_f64_e32 v[15:16], v[240:241], v[201:202]
	v_fma_f64 v[34:35], v[24:25], v[84:85], -v[218:219]
	v_fma_f64 v[24:25], v[52:53], v[84:85], v[86:87]
	v_fma_f64 v[52:53], v[26:27], v[76:77], -v[230:231]
	v_add_f64_e32 v[84:85], v[244:245], v[203:204]
	v_fma_f64 v[26:27], v[54:55], v[76:77], v[236:237]
	v_add_f64_e32 v[86:87], v[250:251], v[207:208]
	v_add_f64_e32 v[92:93], v[151:152], v[177:178]
	;; [unrolled: 1-line block ×5, first 2 shown]
	v_lshlrev_b32_e32 v5, 3, v167
	v_add_f64_e32 v[96:97], v[234:235], v[195:196]
	v_lshrrev_b32_e32 v54, 2, v159
	v_lshl_add_u32 v55, v23, 3, 0
	global_wb scope:SCOPE_SE
	s_wait_loadcnt 0x0
	s_wait_storecnt 0x0
	v_sub_nc_u32_e32 v10, 0, v5
	v_lshlrev_b32_e32 v5, 3, v150
	s_barrier_signal -1
	s_barrier_wait -1
	global_inv scope:SCOPE_SE
	ds_store_2addr_b64 v55, v[15:16], v[84:85] offset0:8 offset1:12
	ds_store_2addr_b64 v55, v[86:87], v[90:91] offset0:16 offset1:20
	;; [unrolled: 1-line block ×5, first 2 shown]
	ds_store_2addr_b64 v55, v[96:97], v[13:14] offset1:4
	ds_store_b64 v55, v[21:22] offset:384
	v_sub_nc_u32_e32 v9, 0, v5
	v_lshlrev_b32_e32 v5, 3, v153
	s_delay_alu instid0(VALU_DEP_1) | instskip(SKIP_1) | instid1(VALU_DEP_1)
	v_sub_nc_u32_e32 v8, 0, v5
	v_lshlrev_b32_e32 v5, 3, v158
	v_sub_nc_u32_e32 v7, 0, v5
	v_sub_nc_u32_e32 v6, 0, v4
	v_lshlrev_b32_e32 v4, 3, v155
	s_delay_alu instid0(VALU_DEP_1) | instskip(SKIP_1) | instid1(VALU_DEP_1)
	v_sub_nc_u32_e32 v5, 0, v4
	v_lshlrev_b32_e32 v4, 3, v157
	v_sub_nc_u32_e32 v4, 0, v4
	s_and_saveexec_b32 s1, s0
	s_cbranch_execz .LBB0_19
; %bb.18:
	v_add_f64_e32 v[13:14], v[173:174], v[50:51]
	v_add_f64_e64 v[15:16], v[62:63], -v[26:27]
	v_add_f64_e64 v[17:18], v[66:67], -v[24:25]
	v_add_f64_e32 v[19:20], v[50:51], v[52:53]
	v_add_f64_e64 v[88:89], v[64:65], -v[80:81]
	v_add_f64_e32 v[90:91], v[70:71], v[34:35]
	v_add_f64_e32 v[122:123], v[68:69], v[78:79]
	v_mul_lo_u32 v23, v54, 52
	s_delay_alu instid0(VALU_DEP_1) | instskip(NEXT) | instid1(VALU_DEP_1)
	v_or_b32_e32 v23, v23, v145
	v_lshl_add_u32 v23, v23, 3, 0
	v_add_f64_e32 v[13:14], v[13:14], v[70:71]
	v_mul_f64_e32 v[21:22], s[28:29], v[15:16]
	v_mul_f64_e32 v[28:29], s[26:27], v[15:16]
	;; [unrolled: 1-line block ×18, first 2 shown]
	v_add_f64_e32 v[13:14], v[13:14], v[68:69]
	v_fma_f64 v[110:111], v[19:20], s[20:21], v[21:22]
	v_fma_f64 v[21:22], v[19:20], s[20:21], -v[21:22]
	v_fma_f64 v[112:113], v[19:20], s[18:19], v[28:29]
	v_fma_f64 v[28:29], v[19:20], s[18:19], -v[28:29]
	;; [unrolled: 2-line block ×3, first 2 shown]
	v_fma_f64 v[118:119], v[19:20], s[12:13], -v[86:87]
	v_fma_f64 v[76:77], v[19:20], s[14:15], -v[76:77]
	v_fma_f64 v[84:85], v[19:20], s[10:11], v[84:85]
	v_fma_f64 v[86:87], v[19:20], s[12:13], v[86:87]
	v_fma_f64 v[120:121], v[19:20], s[4:5], -v[15:16]
	v_fma_f64 v[15:16], v[19:20], s[4:5], v[15:16]
	v_add_f64_e64 v[19:20], v[56:57], -v[32:33]
	v_fma_f64 v[142:143], v[90:91], s[4:5], v[92:93]
	v_fma_f64 v[92:93], v[90:91], s[4:5], -v[92:93]
	v_fma_f64 v[151:152], v[90:91], s[10:11], v[94:95]
	v_fma_f64 v[94:95], v[90:91], s[10:11], -v[94:95]
	;; [unrolled: 2-line block ×6, first 2 shown]
	v_fma_f64 v[214:215], v[122:123], s[18:19], v[124:125]
	v_fma_f64 v[216:217], v[122:123], s[12:13], v[126:127]
	v_fma_f64 v[218:219], v[122:123], s[4:5], v[128:129]
	v_fma_f64 v[220:221], v[122:123], s[14:15], v[130:131]
	v_fma_f64 v[130:131], v[122:123], s[14:15], -v[130:131]
	v_fma_f64 v[222:223], v[122:123], s[20:21], v[140:141]
	v_fma_f64 v[140:141], v[122:123], s[20:21], -v[140:141]
	v_fma_f64 v[126:127], v[122:123], s[12:13], -v[126:127]
	;; [unrolled: 1-line block ×4, first 2 shown]
	v_fma_f64 v[224:225], v[122:123], s[10:11], v[88:89]
	v_fma_f64 v[88:89], v[122:123], s[10:11], -v[88:89]
	v_add_f64_e32 v[13:14], v[13:14], v[58:59]
	v_add_f64_e32 v[90:91], v[173:174], v[110:111]
	;; [unrolled: 1-line block ×13, first 2 shown]
	v_add_f64_e64 v[120:121], v[44:45], -v[38:39]
	v_add_f64_e32 v[173:174], v[58:59], v[60:61]
	v_mul_f64_e32 v[203:204], s[36:37], v[19:20]
	v_mul_f64_e32 v[205:206], s[38:39], v[19:20]
	;; [unrolled: 1-line block ×6, first 2 shown]
	v_add_f64_e32 v[13:14], v[13:14], v[46:47]
	v_add_f64_e32 v[90:91], v[142:143], v[90:91]
	;; [unrolled: 1-line block ×13, first 2 shown]
	v_add_f64_e64 v[96:97], v[30:31], -v[36:37]
	v_add_f64_e32 v[110:111], v[46:47], v[48:49]
	v_mul_f64_e32 v[112:113], s[22:23], v[120:121]
	v_mul_f64_e32 v[114:115], s[30:31], v[120:121]
	;; [unrolled: 1-line block ×5, first 2 shown]
	v_fma_f64 v[142:143], v[173:174], s[12:13], v[203:204]
	v_fma_f64 v[151:152], v[173:174], s[12:13], -v[203:204]
	v_fma_f64 v[168:169], v[173:174], s[20:21], v[205:206]
	v_fma_f64 v[175:176], v[173:174], s[20:21], -v[205:206]
	v_fma_f64 v[177:178], v[173:174], s[10:11], v[207:208]
	v_fma_f64 v[203:204], v[173:174], s[4:5], v[210:211]
	v_fma_f64 v[205:206], v[173:174], s[4:5], -v[210:211]
	v_fma_f64 v[210:211], v[173:174], s[18:19], -v[212:213]
	;; [unrolled: 1-line block ×3, first 2 shown]
	v_fma_f64 v[207:208], v[173:174], s[18:19], v[212:213]
	v_mul_f64_e32 v[120:121], s[26:27], v[120:121]
	v_fma_f64 v[212:213], v[173:174], s[14:15], v[19:20]
	v_fma_f64 v[19:20], v[173:174], s[14:15], -v[19:20]
	v_add_f64_e32 v[13:14], v[13:14], v[40:41]
	v_add_f64_e32 v[90:91], v[214:215], v[90:91]
	;; [unrolled: 1-line block ×14, first 2 shown]
	v_mul_f64_e32 v[124:125], s[24:25], v[96:97]
	v_mul_f64_e32 v[126:127], s[22:23], v[96:97]
	;; [unrolled: 1-line block ×6, first 2 shown]
	v_fma_f64 v[173:174], v[110:111], s[14:15], v[112:113]
	v_fma_f64 v[214:215], v[110:111], s[4:5], v[114:115]
	;; [unrolled: 1-line block ×4, first 2 shown]
	v_fma_f64 v[118:119], v[110:111], s[12:13], -v[118:119]
	v_fma_f64 v[220:221], v[110:111], s[10:11], v[122:123]
	v_fma_f64 v[122:123], v[110:111], s[10:11], -v[122:123]
	v_fma_f64 v[114:115], v[110:111], s[4:5], -v[114:115]
	;; [unrolled: 1-line block ×4, first 2 shown]
	v_fma_f64 v[222:223], v[110:111], s[18:19], v[120:121]
	v_fma_f64 v[110:111], v[110:111], s[18:19], -v[120:121]
	v_add_f64_e32 v[13:14], v[13:14], v[42:43]
	v_add_f64_e32 v[90:91], v[142:143], v[90:91]
	;; [unrolled: 1-line block ×13, first 2 shown]
	v_fma_f64 v[19:20], v[88:89], s[10:11], v[124:125]
	v_fma_f64 v[120:121], v[88:89], s[10:11], -v[124:125]
	v_fma_f64 v[124:125], v[88:89], s[14:15], v[126:127]
	v_fma_f64 v[126:127], v[88:89], s[14:15], -v[126:127]
	;; [unrolled: 2-line block ×6, first 2 shown]
	v_add_f64_e32 v[13:14], v[13:14], v[48:49]
	v_add_f64_e32 v[90:91], v[173:174], v[90:91]
	;; [unrolled: 1-line block ×27, first 2 shown]
	s_delay_alu instid0(VALU_DEP_1) | instskip(NEXT) | instid1(VALU_DEP_1)
	v_add_f64_e32 v[13:14], v[13:14], v[34:35]
	v_add_f64_e32 v[13:14], v[13:14], v[52:53]
	ds_store_2addr_b64 v23, v[96:97], v[94:95] offset0:8 offset1:12
	ds_store_2addr_b64 v23, v[76:77], v[28:29] offset0:16 offset1:20
	;; [unrolled: 1-line block ×5, first 2 shown]
	ds_store_2addr_b64 v23, v[13:14], v[17:18] offset1:4
	ds_store_b64 v23, v[15:16] offset:384
.LBB0_19:
	s_wait_alu 0xfffe
	s_or_b32 exec_lo, exec_lo, s1
	s_clause 0x1
	scratch_load_b64 v[15:16], off, off offset:12 th:TH_LOAD_LU
	scratch_load_b64 v[17:18], off, off offset:28 th:TH_LOAD_LU
	v_add_f64_e32 v[13:14], v[0:1], v[72:73]
	v_add_f64_e64 v[2:3], v[2:3], -v[191:192]
	v_add_f64_e32 v[86:87], v[185:186], v[74:75]
	v_add_f64_e64 v[118:119], v[179:180], -v[189:190]
	s_delay_alu instid0(VALU_DEP_4) | instskip(NEXT) | instid1(VALU_DEP_4)
	v_add_f64_e32 v[13:14], v[13:14], v[185:186]
	v_mul_f64_e32 v[120:121], s[40:41], v[2:3]
	v_mul_f64_e32 v[122:123], s[28:29], v[2:3]
	;; [unrolled: 1-line block ×9, first 2 shown]
	v_add_f64_e32 v[13:14], v[13:14], v[183:184]
	s_delay_alu instid0(VALU_DEP_1) | instskip(NEXT) | instid1(VALU_DEP_1)
	v_add_f64_e32 v[13:14], v[13:14], v[181:182]
	v_add_f64_e32 v[13:14], v[13:14], v[136:137]
	s_delay_alu instid0(VALU_DEP_1) | instskip(NEXT) | instid1(VALU_DEP_1)
	v_add_f64_e32 v[13:14], v[13:14], v[104:105]
	;; [unrolled: 3-line block ×3, first 2 shown]
	v_add_f64_e32 v[13:14], v[13:14], v[100:101]
	s_wait_loadcnt 0x1
	v_add_f64_e64 v[15:16], v[15:16], -v[195:196]
	scratch_load_b64 v[195:196], off, off offset:20 th:TH_LOAD_LU ; 8-byte Folded Reload
	s_wait_loadcnt 0x1
	v_add_f64_e64 v[17:18], v[17:18], -v[193:194]
	global_wb scope:SCOPE_SE
	s_wait_loadcnt_dscnt 0x0
	s_barrier_signal -1
	s_barrier_wait -1
	global_inv scope:SCOPE_SE
	v_add_f64_e32 v[13:14], v[13:14], v[132:133]
	v_mul_f64_e32 v[21:22], s[46:47], v[15:16]
	v_mul_f64_e32 v[28:29], s[34:35], v[15:16]
	;; [unrolled: 1-line block ×10, first 2 shown]
	v_add_f64_e32 v[13:14], v[13:14], v[74:75]
	v_fma_f64 v[130:131], v[86:87], s[12:13], v[88:89]
	v_fma_f64 v[88:89], v[86:87], s[12:13], -v[88:89]
	v_fma_f64 v[140:141], v[86:87], s[14:15], v[90:91]
	v_fma_f64 v[90:91], v[86:87], s[14:15], -v[90:91]
	;; [unrolled: 2-line block ×6, first 2 shown]
	v_add_f64_e32 v[19:20], v[72:73], v[195:196]
	v_mul_f64_e32 v[72:73], s[40:41], v[15:16]
	v_mul_f64_e32 v[15:16], s[28:29], v[15:16]
	s_delay_alu instid0(VALU_DEP_3)
	v_fma_f64 v[98:99], v[19:20], s[4:5], v[21:22]
	v_fma_f64 v[108:109], v[19:20], s[12:13], v[28:29]
	v_fma_f64 v[28:29], v[19:20], s[12:13], -v[28:29]
	v_fma_f64 v[110:111], v[19:20], s[10:11], v[72:73]
	v_fma_f64 v[112:113], v[19:20], s[14:15], v[76:77]
	v_fma_f64 v[76:77], v[19:20], s[14:15], -v[76:77]
	;; [unrolled: 3-line block ×3, first 2 shown]
	v_fma_f64 v[84:85], v[19:20], s[18:19], -v[84:85]
	v_fma_f64 v[72:73], v[19:20], s[10:11], -v[72:73]
	;; [unrolled: 1-line block ×3, first 2 shown]
	v_add_f64_e32 v[21:22], v[183:184], v[132:133]
	v_add_f64_e32 v[86:87], v[0:1], v[98:99]
	;; [unrolled: 1-line block ×14, first 2 shown]
	v_add_f64_e64 v[116:117], v[134:135], -v[187:188]
	v_mul_f64_e32 v[134:135], s[22:23], v[118:119]
	v_fma_f64 v[183:184], v[21:22], s[10:11], v[120:121]
	v_fma_f64 v[120:121], v[21:22], s[10:11], -v[120:121]
	v_fma_f64 v[185:186], v[21:22], s[20:21], v[122:123]
	v_fma_f64 v[122:123], v[21:22], s[20:21], -v[122:123]
	;; [unrolled: 2-line block ×6, first 2 shown]
	v_mul_f64_e32 v[181:182], s[38:39], v[118:119]
	v_mul_f64_e32 v[118:119], s[36:37], v[118:119]
	v_add_f64_e32 v[21:22], v[130:131], v[86:87]
	v_add_f64_e32 v[86:87], v[140:141], v[98:99]
	;; [unrolled: 1-line block ×13, first 2 shown]
	v_add_f64_e64 v[88:89], v[106:107], -v[102:103]
	v_mul_f64_e32 v[92:93], s[26:27], v[116:117]
	v_mul_f64_e32 v[96:97], s[24:25], v[116:117]
	;; [unrolled: 1-line block ×6, first 2 shown]
	v_fma_f64 v[116:117], v[19:20], s[14:15], -v[134:135]
	v_fma_f64 v[130:131], v[19:20], s[18:19], v[175:176]
	v_fma_f64 v[136:137], v[19:20], s[4:5], v[177:178]
	;; [unrolled: 1-line block ×4, first 2 shown]
	v_fma_f64 v[134:135], v[19:20], s[18:19], -v[175:176]
	v_fma_f64 v[138:139], v[19:20], s[4:5], -v[177:178]
	v_fma_f64 v[151:152], v[19:20], s[20:21], v[181:182]
	v_fma_f64 v[142:143], v[19:20], s[10:11], -v[179:180]
	v_fma_f64 v[168:169], v[19:20], s[20:21], -v[181:182]
	v_fma_f64 v[173:174], v[19:20], s[12:13], v[118:119]
	v_fma_f64 v[19:20], v[19:20], s[12:13], -v[118:119]
	v_add_nc_u32_e32 v179, 0x1000, v197
	v_add_nc_u32_e32 v180, 0x1400, v197
	v_add_f64_e32 v[21:22], v[183:184], v[21:22]
	v_add_f64_e32 v[86:87], v[185:186], v[86:87]
	;; [unrolled: 1-line block ×13, first 2 shown]
	v_mul_f64_e32 v[82:83], s[28:29], v[88:89]
	v_fma_f64 v[122:123], v[84:85], s[18:19], v[92:93]
	v_fma_f64 v[92:93], v[84:85], s[18:19], -v[92:93]
	v_mul_f64_e32 v[100:101], s[30:31], v[88:89]
	v_mul_f64_e32 v[104:105], s[26:27], v[88:89]
	;; [unrolled: 1-line block ×5, first 2 shown]
	v_fma_f64 v[124:125], v[84:85], s[10:11], v[96:97]
	v_fma_f64 v[126:127], v[84:85], s[12:13], v[102:103]
	;; [unrolled: 1-line block ×4, first 2 shown]
	v_fma_f64 v[96:97], v[84:85], s[10:11], -v[96:97]
	v_fma_f64 v[102:103], v[84:85], s[12:13], -v[102:103]
	;; [unrolled: 1-line block ×4, first 2 shown]
	v_fma_f64 v[177:178], v[84:85], s[14:15], v[112:113]
	v_fma_f64 v[84:85], v[84:85], s[14:15], -v[112:113]
	v_add_f64_e32 v[21:22], v[114:115], v[21:22]
	v_add_f64_e32 v[86:87], v[130:131], v[86:87]
	;; [unrolled: 1-line block ×12, first 2 shown]
	v_add_nc_u32_e32 v140, v166, v12
	v_fma_f64 v[19:20], v[72:73], s[20:21], v[82:83]
	v_fma_f64 v[82:83], v[72:73], s[20:21], -v[82:83]
	v_add_nc_u32_e32 v141, v164, v11
	v_fma_f64 v[112:113], v[72:73], s[4:5], v[100:101]
	v_fma_f64 v[100:101], v[72:73], s[4:5], -v[100:101]
	v_fma_f64 v[114:115], v[72:73], s[18:19], v[104:105]
	v_fma_f64 v[104:105], v[72:73], s[18:19], -v[104:105]
	;; [unrolled: 2-line block ×5, first 2 shown]
	v_add_nc_u32_e32 v142, v162, v10
	v_add_nc_u32_e32 v143, v160, v9
	;; [unrolled: 1-line block ×5, first 2 shown]
	v_add_f64_e32 v[21:22], v[122:123], v[21:22]
	v_add_f64_e32 v[86:87], v[124:125], v[86:87]
	;; [unrolled: 1-line block ×12, first 2 shown]
	v_add_nc_u32_e32 v178, 0x1800, v197
	v_add_nc_u32_e32 v175, v209, v6
	;; [unrolled: 1-line block ×3, first 2 shown]
	v_add_f64_e32 v[122:123], v[13:14], v[195:196]
	v_add_f64_e32 v[74:75], v[19:20], v[21:22]
	;; [unrolled: 1-line block ×13, first 2 shown]
	v_lshl_add_u32 v0, v157, 4, 0
	s_delay_alu instid0(VALU_DEP_1)
	v_add_nc_u32_e32 v177, v0, v4
	ds_load_2addr_b64 v[4:7], v179 offset0:112 offset1:164
	ds_load_2addr_b64 v[0:3], v180 offset0:88 offset1:140
	ds_load_b64 v[94:95], v197
	ds_load_b64 v[96:97], v198
	ds_load_b64 v[98:99], v199
	ds_load_b64 v[100:101], v140
	ds_load_2addr_b64 v[12:15], v178 offset0:64 offset1:116
	ds_load_2addr_b64 v[8:11], v178 offset0:168 offset1:220
	ds_load_b64 v[102:103], v141
	ds_load_b64 v[104:105], v142
	ds_load_b64 v[106:107], v143
	ds_load_b64 v[108:109], v173
	;; [unrolled: 6-line block ×3, first 2 shown]
	global_wb scope:SCOPE_SE
	s_wait_dscnt 0x0
	s_barrier_signal -1
	s_barrier_wait -1
	global_inv scope:SCOPE_SE
	ds_store_2addr_b64 v55, v[84:85], v[86:87] offset0:8 offset1:12
	ds_store_2addr_b64 v55, v[88:89], v[90:91] offset0:16 offset1:20
	;; [unrolled: 1-line block ×5, first 2 shown]
	ds_store_2addr_b64 v55, v[122:123], v[74:75] offset1:4
	ds_store_b64 v55, v[82:83] offset:384
	s_and_saveexec_b32 s33, s0
	s_cbranch_execz .LBB0_21
; %bb.20:
	v_add_f64_e32 v[28:29], v[171:172], v[62:63]
	v_add_f64_e64 v[50:51], v[50:51], -v[52:53]
	s_mov_b32 s28, 0x42a4c3d2
	s_mov_b32 s34, 0x66966769
	;; [unrolled: 1-line block ×11, first 2 shown]
	v_add_f64_e64 v[34:35], v[70:71], -v[34:35]
	v_add_f64_e32 v[52:53], v[62:63], v[26:27]
	s_mov_b32 s25, 0xbfcea1e5
	s_mov_b32 s0, 0xe00740e9
	;; [unrolled: 1-line block ×11, first 2 shown]
	s_wait_alu 0xfffe
	s_mov_b32 s36, s18
	s_mov_b32 s30, s34
	s_mov_b32 s21, 0xbfd6b1d8
	s_mov_b32 s23, 0xbfe7f3cc
	s_mov_b32 s26, 0x93053d00
	v_add_f64_e64 v[68:69], v[68:69], -v[78:79]
	s_mov_b32 s27, 0xbfef11f4
	s_mov_b32 s39, 0x3fedeba7
	;; [unrolled: 1-line block ×3, first 2 shown]
	v_add_f64_e64 v[58:59], v[58:59], -v[60:61]
	s_mov_b32 s41, 0x3fcea1e5
	s_mov_b32 s40, s24
	v_add_f64_e32 v[28:29], v[28:29], v[66:67]
	v_mul_f64_e32 v[62:63], s[12:13], v[50:51]
	v_mul_f64_e32 v[70:71], s[28:29], v[50:51]
	;; [unrolled: 1-line block ×6, first 2 shown]
	s_mov_b32 s13, 0x3fddbe06
	v_add_f64_e32 v[66:67], v[66:67], v[24:25]
	v_add_f64_e64 v[46:47], v[46:47], -v[48:49]
	v_add_f64_e64 v[40:41], v[40:41], -v[42:43]
	v_mul_f64_e32 v[78:79], s[28:29], v[34:35]
	v_mul_f64_e32 v[82:83], s[14:15], v[34:35]
	;; [unrolled: 1-line block ×3, first 2 shown]
	s_wait_alu 0xfffe
	v_mul_f64_e32 v[86:87], s[36:37], v[34:35]
	v_mul_f64_e32 v[88:89], s[30:31], v[34:35]
	;; [unrolled: 1-line block ×7, first 2 shown]
	s_mov_b32 s39, 0x3fea55e2
	s_mov_b32 s38, s28
	v_mul_f64_e32 v[48:49], s[14:15], v[58:59]
	v_add_f64_e32 v[28:29], v[28:29], v[64:65]
	v_fma_f64 v[90:91], v[52:53], s[0:1], v[62:63]
	v_fma_f64 v[92:93], v[52:53], s[10:11], v[70:71]
	v_fma_f64 v[70:71], v[52:53], s[10:11], -v[70:71]
	v_fma_f64 v[118:119], v[52:53], s[4:5], v[72:73]
	v_fma_f64 v[120:121], v[52:53], s[20:21], v[74:75]
	v_fma_f64 v[74:75], v[52:53], s[20:21], -v[74:75]
	;; [unrolled: 3-line block ×3, first 2 shown]
	v_fma_f64 v[76:77], v[52:53], s[22:23], -v[76:77]
	v_fma_f64 v[72:73], v[52:53], s[4:5], -v[72:73]
	;; [unrolled: 1-line block ×3, first 2 shown]
	v_add_f64_e32 v[62:63], v[64:65], v[80:81]
	v_mul_f64_e32 v[64:65], s[24:25], v[68:69]
	v_mul_f64_e32 v[68:69], s[12:13], v[68:69]
	v_fma_f64 v[132:133], v[66:67], s[10:11], v[78:79]
	v_fma_f64 v[78:79], v[66:67], s[10:11], -v[78:79]
	v_fma_f64 v[134:135], v[66:67], s[20:21], v[82:83]
	v_fma_f64 v[82:83], v[66:67], s[20:21], -v[82:83]
	;; [unrolled: 2-line block ×6, first 2 shown]
	v_mul_f64_e32 v[181:182], s[40:41], v[58:59]
	s_wait_alu 0xfffe
	v_mul_f64_e32 v[183:184], s[38:39], v[58:59]
	v_mul_f64_e32 v[42:43], s[18:19], v[46:47]
	v_add_f64_e32 v[28:29], v[28:29], v[56:57]
	v_add_f64_e32 v[66:67], v[171:172], v[90:91]
	;; [unrolled: 1-line block ×14, first 2 shown]
	v_mul_f64_e32 v[124:125], s[36:37], v[58:59]
	v_mul_f64_e32 v[171:172], s[34:35], v[58:59]
	;; [unrolled: 1-line block ×3, first 2 shown]
	v_fma_f64 v[185:186], v[62:63], s[4:5], v[60:61]
	v_fma_f64 v[59:60], v[62:63], s[4:5], -v[60:61]
	v_fma_f64 v[187:188], v[62:63], s[26:27], v[64:65]
	v_fma_f64 v[64:65], v[62:63], s[26:27], -v[64:65]
	;; [unrolled: 2-line block ×6, first 2 shown]
	v_add_f64_e32 v[28:29], v[28:29], v[44:45]
	v_add_f64_e32 v[66:67], v[132:133], v[66:67]
	;; [unrolled: 1-line block ×13, first 2 shown]
	v_mul_f64_e32 v[76:77], s[28:29], v[46:47]
	v_mul_f64_e32 v[78:79], s[40:41], v[46:47]
	;; [unrolled: 1-line block ×3, first 2 shown]
	v_fma_f64 v[88:89], v[55:56], s[20:21], v[48:49]
	v_fma_f64 v[48:49], v[55:56], s[20:21], -v[48:49]
	v_fma_f64 v[118:119], v[55:56], s[22:23], v[124:125]
	v_fma_f64 v[120:121], v[55:56], s[22:23], -v[124:125]
	;; [unrolled: 2-line block ×6, first 2 shown]
	v_add_f64_e32 v[28:29], v[28:29], v[30:31]
	v_add_f64_e32 v[57:58], v[185:186], v[66:67]
	;; [unrolled: 1-line block ×13, first 2 shown]
	v_mul_f64_e32 v[86:87], s[14:15], v[40:41]
	v_mul_f64_e32 v[90:91], s[30:31], v[40:41]
	v_add_f64_e32 v[28:29], v[28:29], v[36:37]
	v_mul_f64_e32 v[36:37], s[24:25], v[40:41]
	v_add_f64_e32 v[63:64], v[120:121], v[63:64]
	v_add_f64_e32 v[61:62], v[124:125], v[61:62]
	;; [unrolled: 1-line block ×7, first 2 shown]
	v_mul_f64_e32 v[44:45], s[30:31], v[46:47]
	v_mul_f64_e32 v[46:47], s[12:13], v[46:47]
	s_delay_alu instid0(VALU_DEP_4)
	v_add_f64_e32 v[28:29], v[28:29], v[32:33]
	v_add_f64_e32 v[32:33], v[59:60], v[52:53]
	v_mul_f64_e32 v[52:53], s[18:19], v[40:41]
	v_mul_f64_e32 v[59:60], s[38:39], v[40:41]
	;; [unrolled: 1-line block ×3, first 2 shown]
	v_fma_f64 v[92:93], v[38:39], s[22:23], v[42:43]
	v_fma_f64 v[42:43], v[38:39], s[22:23], -v[42:43]
	v_fma_f64 v[126:127], v[38:39], s[4:5], v[44:45]
	v_fma_f64 v[44:45], v[38:39], s[4:5], -v[44:45]
	;; [unrolled: 2-line block ×6, first 2 shown]
	v_add_f64_e32 v[46:47], v[88:89], v[57:58]
	v_add_f64_e32 v[57:58], v[118:119], v[66:67]
	;; [unrolled: 1-line block ×6, first 2 shown]
	v_fma_f64 v[82:83], v[30:31], s[20:21], v[86:87]
	v_fma_f64 v[86:87], v[30:31], s[20:21], -v[86:87]
	v_fma_f64 v[88:89], v[30:31], s[4:5], v[90:91]
	v_fma_f64 v[90:91], v[30:31], s[4:5], -v[90:91]
	v_add_f64_e32 v[28:29], v[28:29], v[80:81]
	v_add_f64_e32 v[32:33], v[48:49], v[32:33]
	v_fma_f64 v[48:49], v[30:31], s[26:27], v[36:37]
	v_fma_f64 v[36:37], v[30:31], s[26:27], -v[36:37]
	v_fma_f64 v[71:72], v[30:31], s[22:23], v[52:53]
	v_fma_f64 v[52:53], v[30:31], s[22:23], -v[52:53]
	;; [unrolled: 2-line block ×4, first 2 shown]
	v_add_f64_e32 v[44:45], v[44:45], v[63:64]
	v_add_f64_e32 v[61:62], v[78:79], v[61:62]
	;; [unrolled: 1-line block ×26, first 2 shown]
	v_mul_lo_u32 v28, v54, 52
	s_delay_alu instid0(VALU_DEP_1) | instskip(NEXT) | instid1(VALU_DEP_1)
	v_or_b32_e32 v28, v28, v145
	v_lshl_add_u32 v28, v28, 3, 0
	ds_store_2addr_b64 v28, v[40:41], v[42:43] offset0:8 offset1:12
	ds_store_2addr_b64 v28, v[44:45], v[48:49] offset0:16 offset1:20
	;; [unrolled: 1-line block ×5, first 2 shown]
	ds_store_2addr_b64 v28, v[24:25], v[32:33] offset1:4
	ds_store_b64 v28, v[26:27] offset:384
.LBB0_21:
	s_or_b32 exec_lo, exec_lo, s33
	v_dual_mov_b32 v145, 0 :: v_dual_and_b32 v26, 0xff, v161
	v_and_b32_e32 v27, 0xff, v163
	v_and_b32_e32 v28, 0xffff, v165
	;; [unrolled: 1-line block ×3, first 2 shown]
	s_delay_alu instid0(VALU_DEP_4)
	v_mov_b32_e32 v171, v145
	v_mul_lo_u16 v30, 0x4f, v26
	v_mul_lo_u16 v31, 0x4f, v27
	v_mul_u32_u24_e32 v152, 0x4ec5, v28
	v_mul_u32_u24_e32 v187, 0x4ec5, v29
	v_dual_mov_b32 v219, v145 :: v_dual_and_b32 v28, 0xffff, v150
	v_lshrrev_b16 v29, 12, v30
	v_lshrrev_b16 v30, 12, v31
	v_lshrrev_b32_e32 v31, 20, v152
	v_lshrrev_b32_e32 v32, 20, v187
	v_mul_u32_u24_e32 v186, 0x4ec5, v28
	v_mul_lo_u16 v28, v29, 52
	v_mul_lo_u16 v29, v30, 52
	;; [unrolled: 1-line block ×4, first 2 shown]
	v_lshrrev_b32_e32 v32, 20, v186
	v_sub_nc_u16 v28, v161, v28
	v_sub_nc_u16 v29, v163, v29
	v_lshlrev_b64_e32 v[24:25], 4, v[144:145]
	v_sub_nc_u16 v30, v165, v30
	v_sub_nc_u16 v31, v167, v31
	v_mul_lo_u16 v32, v32, 52
	v_and_b32_e32 v160, 0xff, v28
	v_and_b32_e32 v162, 0xff, v29
	;; [unrolled: 1-line block ×3, first 2 shown]
	v_add_co_u32 v92, s0, s8, v24
	v_and_b32_e32 v166, 0xffff, v31
	s_wait_alu 0xf1ff
	v_add_co_ci_u32_e64 v93, s0, s9, v25, s0
	v_sub_nc_u16 v28, v150, v32
	v_lshlrev_b32_e32 v29, 4, v160
	v_lshlrev_b32_e32 v32, 4, v162
	;; [unrolled: 1-line block ×4, first 2 shown]
	global_wb scope:SCOPE_SE
	s_wait_dscnt 0x0
	s_barrier_signal -1
	s_barrier_wait -1
	global_inv scope:SCOPE_SE
	global_load_b128 v[24:27], v[92:93], off offset:800
	v_and_b32_e32 v172, 0xffff, v28
	s_clause 0x3
	global_load_b128 v[28:31], v29, s[8:9] offset:800
	global_load_b128 v[32:35], v32, s[8:9] offset:800
	;; [unrolled: 1-line block ×4, first 2 shown]
	scratch_load_b64 v[225:226], off, off   ; 8-byte Folded Reload
	v_and_b32_e32 v44, 0xffff, v153
	v_and_b32_e32 v46, 0xffff, v158
	;; [unrolled: 1-line block ×4, first 2 shown]
	v_lshlrev_b32_e32 v45, 4, v172
	v_mul_u32_u24_e32 v196, 0x4ec5, v44
	v_mul_u32_u24_e32 v44, 0x4ec5, v46
	v_lshrrev_b32_e32 v216, 21, v187
	v_lshrrev_b32_e32 v217, 21, v186
	v_lshlrev_b32_e32 v218, 1, v159
	v_lshrrev_b32_e32 v152, 21, v152
	v_lshrrev_b32_e32 v44, 20, v44
	v_lshlrev_b64_e32 v[170:171], 4, v[170:171]
	v_add_nc_u32_e32 v156, 0xc00, v197
	v_add_nc_u32_e32 v151, 0x1c00, v197
	v_mul_lo_u16 v152, 0x68, v152
	v_mul_lo_u16 v44, v44, 52
	s_mov_b32 s4, 0xe8584caa
	v_add_co_u32 v170, s0, s8, v170
	s_wait_alu 0xf1ff
	v_add_co_ci_u32_e64 v171, s0, s9, v171, s0
	v_sub_nc_u16 v44, v158, v44
	v_sub_nc_u16 v152, v165, v152
	s_mov_b32 s5, 0x3febb67a
	s_mov_b32 s11, 0xbfebb67a
	s_wait_alu 0xfffe
	s_mov_b32 s10, s4
	v_and_b32_e32 v182, 0xffff, v44
	v_add_nc_u32_e32 v223, 0x800, v197
	v_add_nc_u32_e32 v224, 0x800, v198
	s_delay_alu instid0(VALU_DEP_3) | instskip(SKIP_4) | instid1(VALU_DEP_1)
	v_lshlrev_b32_e32 v52, 4, v182
	s_wait_loadcnt 0x5
	v_mul_f64_e32 v[186:187], v[4:5], v[26:27]
	s_wait_loadcnt 0x0
	v_and_b32_e32 v47, 0xffff, v225
	v_mul_u32_u24_e32 v46, 0x4ec5, v47
	v_mul_u32_u24_e32 v47, 0x4ec5, v48
	;; [unrolled: 1-line block ×3, first 2 shown]
	v_lshrrev_b32_e32 v49, 20, v196
	v_lshrrev_b32_e32 v196, 21, v196
	;; [unrolled: 1-line block ×5, first 2 shown]
	v_mul_lo_u16 v49, v49, 52
	s_delay_alu instid0(VALU_DEP_4) | instskip(NEXT) | instid1(VALU_DEP_4)
	v_mul_lo_u16 v46, v46, 52
	v_mul_lo_u16 v47, v47, 52
	s_delay_alu instid0(VALU_DEP_4) | instskip(NEXT) | instid1(VALU_DEP_4)
	v_mul_lo_u16 v48, v48, 52
	v_sub_nc_u16 v49, v153, v49
	s_delay_alu instid0(VALU_DEP_4) | instskip(NEXT) | instid1(VALU_DEP_4)
	v_sub_nc_u16 v46, v225, v46
	v_sub_nc_u16 v47, v155, v47
	s_delay_alu instid0(VALU_DEP_4) | instskip(NEXT) | instid1(VALU_DEP_4)
	v_sub_nc_u16 v48, v157, v48
	v_and_b32_e32 v181, 0xffff, v49
	s_delay_alu instid0(VALU_DEP_4) | instskip(NEXT) | instid1(VALU_DEP_4)
	v_and_b32_e32 v183, 0xffff, v46
	v_and_b32_e32 v184, 0xffff, v47
	s_delay_alu instid0(VALU_DEP_4) | instskip(NEXT) | instid1(VALU_DEP_4)
	v_and_b32_e32 v185, 0xffff, v48
	v_lshlrev_b32_e32 v48, 4, v181
	s_delay_alu instid0(VALU_DEP_4) | instskip(NEXT) | instid1(VALU_DEP_4)
	v_lshlrev_b32_e32 v56, 4, v183
	v_lshlrev_b32_e32 v60, 4, v184
	s_delay_alu instid0(VALU_DEP_4)
	v_lshlrev_b32_e32 v64, 4, v185
	s_clause 0x5
	global_load_b128 v[44:47], v45, s[8:9] offset:800
	global_load_b128 v[48:51], v48, s[8:9] offset:800
	;; [unrolled: 1-line block ×6, first 2 shown]
	ds_load_2addr_b64 v[88:91], v179 offset0:112 offset1:164
	ds_load_2addr_b64 v[84:87], v180 offset0:88 offset1:140
	;; [unrolled: 1-line block ×6, first 2 shown]
	ds_load_b64 v[118:119], v197
	ds_load_b64 v[120:121], v198
	;; [unrolled: 1-line block ×12, first 2 shown]
	global_wb scope:SCOPE_SE
	s_wait_loadcnt_dscnt 0x0
	s_barrier_signal -1
	s_barrier_wait -1
	global_inv scope:SCOPE_SE
	v_mul_f64_e32 v[168:169], v[88:89], v[26:27]
	v_mul_f64_e32 v[188:189], v[90:91], v[26:27]
	;; [unrolled: 1-line block ×11, first 2 shown]
	v_fma_f64 v[88:89], v[88:89], v[24:25], v[186:187]
	v_fma_f64 v[4:5], v[4:5], v[24:25], -v[168:169]
	v_fma_f64 v[6:7], v[6:7], v[24:25], -v[188:189]
	;; [unrolled: 1-line block ×4, first 2 shown]
	v_fma_f64 v[24:25], v[90:91], v[24:25], v[26:27]
	v_fma_f64 v[0:1], v[0:1], v[28:29], -v[190:191]
	v_fma_f64 v[26:27], v[84:85], v[28:29], v[30:31]
	v_fma_f64 v[2:3], v[2:3], v[32:33], -v[192:193]
	v_fma_f64 v[28:29], v[86:87], v[32:33], v[34:35]
	v_fma_f64 v[30:31], v[80:81], v[36:37], v[38:39]
	;; [unrolled: 1-line block ×3, first 2 shown]
	v_lshl_add_u32 v80, v181, 3, 0
	v_lshl_add_u32 v81, v182, 3, 0
	;; [unrolled: 1-line block ×5, first 2 shown]
	v_lshlrev_b64_e32 v[168:169], 4, v[218:219]
	v_mul_lo_u16 v188, 0x68, v216
	v_mul_lo_u16 v189, 0x68, v217
	;; [unrolled: 1-line block ×3, first 2 shown]
	s_delay_alu instid0(VALU_DEP_4)
	v_add_co_u32 v168, s0, s8, v168
	s_wait_alu 0xf1ff
	v_add_co_ci_u32_e64 v169, s0, s9, v169, s0
	v_sub_nc_u16 v186, v167, v188
	v_sub_nc_u16 v187, v150, v189
	;; [unrolled: 1-line block ×3, first 2 shown]
	s_delay_alu instid0(VALU_DEP_3) | instskip(NEXT) | instid1(VALU_DEP_3)
	v_and_b32_e32 v220, 0xffff, v186
	v_and_b32_e32 v221, 0xffff, v187
	s_delay_alu instid0(VALU_DEP_3)
	v_and_b32_e32 v222, 0xffff, v188
	v_add_f64_e64 v[4:5], v[94:95], -v[4:5]
	v_add_f64_e64 v[6:7], v[96:97], -v[6:7]
	;; [unrolled: 1-line block ×6, first 2 shown]
	v_mul_f64_e32 v[202:203], v[76:77], v[46:47]
	v_mul_f64_e32 v[204:205], v[78:79], v[50:51]
	;; [unrolled: 1-line block ×12, first 2 shown]
	v_fma_f64 v[8:9], v[8:9], v[44:45], -v[202:203]
	v_fma_f64 v[10:11], v[10:11], v[48:49], -v[204:205]
	;; [unrolled: 1-line block ×3, first 2 shown]
	v_fma_f64 v[34:35], v[76:77], v[44:45], v[46:47]
	v_fma_f64 v[36:37], v[78:79], v[48:49], v[50:51]
	;; [unrolled: 1-line block ×3, first 2 shown]
	v_fma_f64 v[22:23], v[22:23], v[56:57], -v[208:209]
	v_fma_f64 v[40:41], v[74:75], v[56:57], v[58:59]
	v_fma_f64 v[16:17], v[16:17], v[60:61], -v[210:211]
	v_fma_f64 v[42:43], v[68:69], v[60:61], v[62:63]
	;; [unrolled: 2-line block ×3, first 2 shown]
	v_add_f64_e64 v[62:63], v[118:119], -v[88:89]
	v_add_f64_e64 v[64:65], v[120:121], -v[24:25]
	;; [unrolled: 1-line block ×6, first 2 shown]
	v_lshl_add_u32 v76, v162, 3, 0
	v_lshl_add_u32 v77, v164, 3, 0
	;; [unrolled: 1-line block ×4, first 2 shown]
	v_fma_f64 v[52:53], v[102:103], 2.0, -v[12:13]
	v_fma_f64 v[54:55], v[104:105], 2.0, -v[14:15]
	v_add_nc_u32_e32 v103, 0x800, v76
	v_add_nc_u32_e32 v104, 0x800, v77
	;; [unrolled: 1-line block ×3, first 2 shown]
	v_fma_f64 v[48:49], v[98:99], 2.0, -v[0:1]
	v_fma_f64 v[50:51], v[100:101], 2.0, -v[2:3]
	v_mov_b32_e32 v162, v145
	v_mov_b32_e32 v164, v145
	;; [unrolled: 1-line block ×3, first 2 shown]
	v_add_f64_e64 v[8:9], v[106:107], -v[8:9]
	v_add_f64_e64 v[10:11], v[108:109], -v[10:11]
	;; [unrolled: 1-line block ×12, first 2 shown]
	v_fma_f64 v[41:42], v[94:95], 2.0, -v[4:5]
	v_fma_f64 v[76:77], v[118:119], 2.0, -v[62:63]
	;; [unrolled: 1-line block ×3, first 2 shown]
	v_lshl_add_u32 v19, v160, 3, 0
	v_and_b32_e32 v16, 0xffff, v152
	v_fma_f64 v[86:87], v[128:129], 2.0, -v[31:32]
	v_mov_b32_e32 v160, v145
	s_delay_alu instid0(VALU_DEP_4)
	v_add_nc_u32_e32 v102, 0x400, v19
	v_fma_f64 v[56:57], v[106:107], 2.0, -v[8:9]
	v_add_nc_u32_e32 v106, 0x1000, v79
	v_fma_f64 v[78:79], v[120:121], 2.0, -v[64:65]
	v_fma_f64 v[58:59], v[108:109], 2.0, -v[10:11]
	v_add_nc_u32_e32 v107, 0x1400, v80
	v_add_nc_u32_e32 v108, 0x1800, v81
	v_fma_f64 v[80:81], v[122:123], 2.0, -v[25:26]
	v_fma_f64 v[60:61], v[110:111], 2.0, -v[20:21]
	v_add_nc_u32_e32 v109, 0x1800, v82
	v_add_nc_u32_e32 v110, 0x2000, v83
	v_fma_f64 v[82:83], v[124:125], 2.0, -v[27:28]
	v_add_nc_u32_e32 v111, 0x2000, v84
	v_fma_f64 v[84:85], v[126:127], 2.0, -v[29:30]
	v_fma_f64 v[88:89], v[130:131], 2.0, -v[33:34]
	v_fma_f64 v[90:91], v[132:133], 2.0, -v[35:36]
	v_fma_f64 v[94:95], v[134:135], 2.0, -v[37:38]
	v_fma_f64 v[70:71], v[112:113], 2.0, -v[22:23]
	v_fma_f64 v[96:97], v[136:137], 2.0, -v[39:40]
	v_fma_f64 v[72:73], v[114:115], 2.0, -v[46:47]
	v_fma_f64 v[98:99], v[138:139], 2.0, -v[66:67]
	v_fma_f64 v[74:75], v[116:117], 2.0, -v[17:18]
	v_fma_f64 v[100:101], v[214:215], 2.0, -v[68:69]
	ds_store_2addr_b64 v197, v[41:42], v[4:5] offset1:52
	ds_store_2addr_b64 v197, v[43:44], v[6:7] offset0:104 offset1:156
	ds_store_2addr_b64 v102, v[48:49], v[0:1] offset0:80 offset1:132
	;; [unrolled: 1-line block ×11, first 2 shown]
	global_wb scope:SCOPE_SE
	s_wait_dscnt 0x0
	s_barrier_signal -1
	s_barrier_wait -1
	global_inv scope:SCOPE_SE
	ds_load_b64 v[0:1], v197
	ds_load_2addr_b64 v[17:20], v178 offset0:12 offset1:64
	ds_load_2addr_b64 v[21:24], v156 offset0:84 offset1:136
	ds_load_2addr_b64 v[42:45], v178 offset0:116 offset1:168
	ds_load_2addr_b64 v[46:49], v179 offset0:60 offset1:112
	ds_load_2addr_b64 v[50:53], v151 offset0:92 offset1:144
	ds_load_2addr_b64 v[54:57], v179 offset0:164 offset1:216
	ds_load_2addr_b64 v[58:61], v154 offset0:68 offset1:120
	ds_load_b64 v[10:11], v140
	ds_load_b64 v[4:5], v141
	;; [unrolled: 1-line block ×8, first 2 shown]
	ds_load_b64 v[181:182], v197 offset:9568
	global_wb scope:SCOPE_SE
	s_wait_dscnt 0x0
	s_barrier_signal -1
	s_barrier_wait -1
	global_inv scope:SCOPE_SE
	ds_store_2addr_b64 v197, v[76:77], v[62:63] offset1:52
	ds_store_2addr_b64 v197, v[78:79], v[64:65] offset0:104 offset1:156
	ds_store_2addr_b64 v102, v[80:81], v[25:26] offset0:80 offset1:132
	;; [unrolled: 1-line block ×11, first 2 shown]
	global_wb scope:SCOPE_SE
	s_wait_dscnt 0x0
	s_barrier_signal -1
	s_barrier_wait -1
	global_inv scope:SCOPE_SE
	s_clause 0x3
	global_load_b128 v[62:65], v[168:169], off offset:1632
	global_load_b128 v[66:69], v[170:171], off offset:1648
	;; [unrolled: 1-line block ×4, first 2 shown]
	v_dual_mov_b32 v168, v145 :: v_dual_lshlrev_b32 v25, 5, v16
	v_lshlrev_b32_e32 v26, 5, v220
	s_clause 0x1
	global_load_b128 v[78:81], v25, s[8:9] offset:1648
	global_load_b128 v[82:85], v25, s[8:9] offset:1632
	v_lshlrev_b32_e32 v27, 5, v221
	v_lshlrev_b32_e32 v25, 5, v222
	s_clause 0x5
	global_load_b128 v[86:89], v26, s[8:9] offset:1632
	global_load_b128 v[94:97], v26, s[8:9] offset:1648
	;; [unrolled: 1-line block ×6, first 2 shown]
	v_lshlrev_b64_e32 v[25:26], 4, v[159:160]
	v_lshlrev_b64_e32 v[27:28], 4, v[161:162]
	;; [unrolled: 1-line block ×5, first 2 shown]
	v_add_co_u32 v40, s0, s8, v25
	s_wait_alu 0xf1ff
	v_add_co_ci_u32_e64 v41, s0, s9, v26, s0
	ds_load_2addr_b64 v[114:117], v156 offset0:84 offset1:136
	ds_load_2addr_b64 v[118:121], v178 offset0:116 offset1:168
	ds_load_b64 v[25:26], v174
	ds_load_2addr_b64 v[122:125], v178 offset0:12 offset1:64
	ds_load_2addr_b64 v[126:129], v179 offset0:60 offset1:112
	;; [unrolled: 1-line block ×3, first 2 shown]
	v_add_co_u32 v36, s0, s8, v27
	s_wait_alu 0xf1ff
	v_add_co_ci_u32_e64 v37, s0, s9, v28, s0
	v_add_co_u32 v32, s0, s8, v29
	s_wait_alu 0xf1ff
	v_add_co_ci_u32_e64 v33, s0, s9, v30, s0
	ds_load_2addr_b64 v[134:137], v179 offset0:164 offset1:216
	ds_load_2addr_b64 v[159:162], v154 offset0:68 offset1:120
	ds_load_b64 v[30:31], v197
	ds_load_b64 v[90:91], v173
	;; [unrolled: 1-line block ×4, first 2 shown]
	ds_load_b64 v[165:166], v197 offset:9568
	v_add_co_u32 v28, s0, s8, v34
	s_wait_alu 0xf1ff
	v_add_co_ci_u32_e64 v29, s0, s9, v35, s0
	v_lshl_add_u32 v27, v16, 3, 0
	v_lshl_add_u32 v156, v220, 3, 0
	v_lshl_add_u32 v220, v221, 3, 0
	s_wait_loadcnt_dscnt 0xb0c
	v_mul_f64_e32 v[167:168], v[114:115], v[64:65]
	s_wait_loadcnt_dscnt 0xa0b
	v_mul_f64_e32 v[183:184], v[120:121], v[68:69]
	s_wait_loadcnt 0x9
	v_mul_f64_e32 v[169:170], v[116:117], v[72:73]
	s_wait_loadcnt 0x8
	v_mul_f64_e32 v[171:172], v[118:119], v[76:77]
	s_wait_dscnt 0xa
	v_mul_f64_e32 v[185:186], v[25:26], v[72:73]
	v_mul_f64_e32 v[187:188], v[138:139], v[72:73]
	s_wait_dscnt 0x9
	v_mul_f64_e32 v[189:190], v[124:125], v[68:69]
	v_mul_f64_e32 v[191:192], v[19:20], v[68:69]
	;; [unrolled: 1-line block ×4, first 2 shown]
	s_wait_dscnt 0x8
	v_mul_f64_e32 v[195:196], v[126:127], v[64:65]
	s_wait_dscnt 0x7
	v_mul_f64_e32 v[200:201], v[130:131], v[76:77]
	v_mul_f64_e32 v[34:35], v[23:24], v[72:73]
	;; [unrolled: 1-line block ×5, first 2 shown]
	s_wait_loadcnt 0x6
	v_mul_f64_e32 v[202:203], v[128:129], v[84:85]
	v_mul_f64_e32 v[204:205], v[132:133], v[80:81]
	;; [unrolled: 1-line block ×4, first 2 shown]
	s_wait_loadcnt_dscnt 0x506
	v_mul_f64_e32 v[206:207], v[134:135], v[88:89]
	s_wait_loadcnt_dscnt 0x405
	v_mul_f64_e32 v[208:209], v[159:160], v[96:97]
	v_mul_f64_e32 v[84:85], v[54:55], v[88:89]
	;; [unrolled: 1-line block ×3, first 2 shown]
	s_wait_loadcnt 0x3
	v_mul_f64_e32 v[210:211], v[136:137], v[100:101]
	s_wait_loadcnt 0x2
	v_mul_f64_e32 v[212:213], v[161:162], v[104:105]
	v_mul_f64_e32 v[96:97], v[56:57], v[100:101]
	;; [unrolled: 1-line block ×3, first 2 shown]
	s_wait_loadcnt 0x1
	v_mul_f64_e32 v[216:217], v[122:123], v[108:109]
	s_wait_loadcnt_dscnt 0x0
	v_mul_f64_e32 v[218:219], v[165:166], v[112:113]
	v_mul_f64_e32 v[104:105], v[17:18], v[108:109]
	;; [unrolled: 1-line block ×3, first 2 shown]
	v_fma_f64 v[21:22], v[21:22], v[62:63], -v[167:168]
	v_fma_f64 v[44:45], v[44:45], v[66:67], -v[183:184]
	;; [unrolled: 1-line block ×5, first 2 shown]
	v_fma_f64 v[25:26], v[25:26], v[70:71], v[187:188]
	v_fma_f64 v[19:20], v[19:20], v[66:67], -v[189:190]
	v_fma_f64 v[124:125], v[124:125], v[66:67], v[191:192]
	v_fma_f64 v[114:115], v[114:115], v[62:63], v[193:194]
	;; [unrolled: 1-line block ×3, first 2 shown]
	v_fma_f64 v[46:47], v[46:47], v[62:63], -v[195:196]
	v_fma_f64 v[50:51], v[50:51], v[74:75], -v[200:201]
	v_fma_f64 v[34:35], v[116:117], v[70:71], v[34:35]
	v_fma_f64 v[66:67], v[120:121], v[66:67], v[68:69]
	;; [unrolled: 1-line block ×4, first 2 shown]
	v_fma_f64 v[48:49], v[48:49], v[82:83], -v[202:203]
	v_fma_f64 v[52:53], v[52:53], v[78:79], -v[204:205]
	v_fma_f64 v[76:77], v[128:129], v[82:83], v[76:77]
	v_fma_f64 v[78:79], v[132:133], v[78:79], v[80:81]
	v_fma_f64 v[54:55], v[54:55], v[86:87], -v[206:207]
	v_fma_f64 v[58:59], v[58:59], v[94:95], -v[208:209]
	v_fma_f64 v[80:81], v[134:135], v[86:87], v[84:85]
	v_fma_f64 v[82:83], v[159:160], v[94:95], v[88:89]
	;; [unrolled: 4-line block ×4, first 2 shown]
	ds_load_b64 v[68:69], v140
	ds_load_b64 v[70:71], v141
	;; [unrolled: 1-line block ×4, first 2 shown]
	v_lshl_add_u32 v191, v222, 3, 0
	v_add_nc_u32_e32 v192, 0x1000, v27
	v_add_nc_u32_e32 v193, 0x1000, v156
	;; [unrolled: 1-line block ×3, first 2 shown]
	global_wb scope:SCOPE_SE
	s_wait_dscnt 0x0
	v_add_f64_e32 v[126:127], v[14:15], v[21:22]
	v_add_nc_u32_e32 v195, 0x1c00, v191
	v_add_f64_e32 v[100:101], v[23:24], v[44:45]
	v_add_f64_e32 v[98:99], v[21:22], v[42:43]
	;; [unrolled: 1-line block ×5, first 2 shown]
	v_add_f64_e64 v[106:107], v[25:26], -v[124:125]
	v_add_f64_e32 v[25:26], v[25:26], v[124:125]
	v_add_f64_e64 v[128:129], v[114:115], -v[118:119]
	v_add_f64_e32 v[130:131], v[163:164], v[114:115]
	v_add_f64_e32 v[114:115], v[114:115], v[118:119]
	;; [unrolled: 1-line block ×3, first 2 shown]
	v_add_f64_e64 v[134:135], v[34:35], -v[66:67]
	v_add_f64_e32 v[136:137], v[151:152], v[34:35]
	v_add_f64_e32 v[34:35], v[34:35], v[66:67]
	v_add_f64_e64 v[161:162], v[62:63], -v[64:65]
	v_add_f64_e32 v[165:166], v[68:69], v[62:63]
	v_add_f64_e32 v[62:63], v[62:63], v[64:65]
	;; [unrolled: 1-line block ×5, first 2 shown]
	v_add_f64_e64 v[112:113], v[112:113], -v[19:20]
	v_add_f64_e32 v[171:172], v[80:81], v[82:83]
	v_add_f64_e32 v[132:133], v[12:13], v[23:24]
	;; [unrolled: 1-line block ×3, first 2 shown]
	v_add_f64_e64 v[21:22], v[21:22], -v[42:43]
	v_add_f64_e32 v[183:184], v[84:85], v[86:87]
	v_add_f64_e64 v[23:24], v[23:24], -v[44:45]
	v_add_f64_e32 v[122:123], v[16:17], v[138:139]
	v_add_f64_e32 v[159:160], v[10:11], v[46:47]
	;; [unrolled: 1-line block ×3, first 2 shown]
	v_add_f64_e64 v[46:47], v[46:47], -v[50:51]
	v_add_f64_e32 v[169:170], v[4:5], v[48:49]
	v_add_f64_e64 v[48:49], v[48:49], -v[52:53]
	v_add_f64_e32 v[181:182], v[6:7], v[54:55]
	;; [unrolled: 2-line block ×4, first 2 shown]
	v_fma_f64 v[12:13], v[100:101], -0.5, v[12:13]
	v_fma_f64 v[14:15], v[98:99], -0.5, v[14:15]
	v_add_f64_e64 v[98:99], v[80:81], -v[82:83]
	v_add_f64_e64 v[100:101], v[84:85], -v[86:87]
	v_fma_f64 v[0:1], v[96:97], -0.5, v[0:1]
	v_add_f64_e64 v[96:97], v[76:77], -v[78:79]
	v_add_f64_e32 v[76:77], v[70:71], v[76:77]
	v_add_f64_e32 v[80:81], v[72:73], v[80:81]
	;; [unrolled: 1-line block ×3, first 2 shown]
	v_fma_f64 v[25:26], v[25:26], -0.5, v[30:31]
	v_add_f64_e32 v[30:31], v[126:127], v[42:43]
	v_fma_f64 v[42:43], v[114:115], -0.5, v[163:164]
	v_fma_f64 v[10:11], v[104:105], -0.5, v[10:11]
	v_add_f64_e64 v[104:105], v[88:89], -v[94:95]
	v_add_f64_e32 v[88:89], v[90:91], v[88:89]
	v_fma_f64 v[34:35], v[34:35], -0.5, v[151:152]
	v_fma_f64 v[62:63], v[62:63], -0.5, v[68:69]
	;; [unrolled: 1-line block ×5, first 2 shown]
	v_add_f64_e64 v[16:17], v[16:17], -v[138:139]
	v_fma_f64 v[70:71], v[171:172], -0.5, v[72:73]
	v_add_f64_e32 v[18:19], v[102:103], v[19:20]
	v_fma_f64 v[8:9], v[116:117], -0.5, v[8:9]
	v_add_f64_e32 v[102:103], v[120:121], v[124:125]
	v_fma_f64 v[72:73], v[183:184], -0.5, v[74:75]
	v_add_f64_e32 v[108:109], v[130:131], v[118:119]
	v_fma_f64 v[2:3], v[122:123], -0.5, v[2:3]
	v_add_f64_e32 v[44:45], v[132:133], v[44:45]
	v_fma_f64 v[74:75], v[187:188], -0.5, v[90:91]
	v_add_f64_e32 v[66:67], v[136:137], v[66:67]
	v_add_f64_e32 v[50:51], v[159:160], v[50:51]
	v_add_f64_e32 v[64:65], v[165:166], v[64:65]
	;; [unrolled: 1-line block ×5, first 2 shown]
	s_barrier_signal -1
	v_add_f64_e32 v[90:91], v[189:190], v[138:139]
	v_fma_f64 v[114:115], v[134:135], s[4:5], v[12:13]
	s_wait_alu 0xfffe
	v_fma_f64 v[12:13], v[134:135], s[10:11], v[12:13]
	s_barrier_wait -1
	global_inv scope:SCOPE_SE
	v_fma_f64 v[110:111], v[106:107], s[4:5], v[0:1]
	v_fma_f64 v[0:1], v[106:107], s[10:11], v[0:1]
	v_add_f64_e32 v[76:77], v[76:77], v[78:79]
	v_add_f64_e32 v[78:79], v[80:81], v[82:83]
	;; [unrolled: 1-line block ×3, first 2 shown]
	v_fma_f64 v[84:85], v[112:113], s[10:11], v[25:26]
	v_fma_f64 v[25:26], v[112:113], s[4:5], v[25:26]
	;; [unrolled: 1-line block ×6, first 2 shown]
	v_add_f64_e32 v[82:83], v[88:89], v[94:95]
	v_fma_f64 v[88:89], v[23:24], s[10:11], v[34:35]
	v_fma_f64 v[34:35], v[23:24], s[4:5], v[34:35]
	;; [unrolled: 1-line block ×22, first 2 shown]
	ds_store_2addr_b64 v197, v[18:19], v[110:111] offset1:104
	ds_store_b64 v197, v[0:1] offset:1664
	ds_store_2addr_b64 v198, v[30:31], v[106:107] offset1:104
	ds_store_b64 v198, v[14:15] offset:1664
	ds_store_2addr_b64 v223, v[44:45], v[114:115] offset0:56 offset1:160
	ds_store_b64 v197, v[12:13] offset:4160
	ds_store_2addr_b64 v224, v[50:51], v[116:117] offset0:56 offset1:160
	;; [unrolled: 2-line block ×3, first 2 shown]
	ds_store_2addr_b64 v193, v[58:59], v[120:121] offset0:112 offset1:216
	ds_store_2addr_b64 v194, v[60:61], v[122:123] offset0:40 offset1:144
	ds_store_b64 v27, v[4:5] offset:6656
	ds_store_b64 v220, v[8:9] offset:9152
	ds_store_2addr_b64 v195, v[90:91], v[96:97] offset0:40 offset1:144
	ds_store_b64 v156, v[6:7] offset:6656
	ds_store_b64 v191, v[2:3] offset:9152
	global_wb scope:SCOPE_SE
	s_wait_dscnt 0x0
	s_barrier_signal -1
	s_barrier_wait -1
	global_inv scope:SCOPE_SE
	ds_load_2addr_b64 v[0:3], v179 offset0:112 offset1:164
	ds_load_2addr_b64 v[4:7], v180 offset0:88 offset1:140
	ds_load_b64 v[30:31], v197
	ds_load_b64 v[90:91], v198
	ds_load_b64 v[96:97], v199
	ds_load_b64 v[98:99], v140
	ds_load_2addr_b64 v[8:11], v178 offset0:64 offset1:116
	ds_load_2addr_b64 v[12:15], v178 offset0:168 offset1:220
	ds_load_b64 v[100:101], v141
	ds_load_b64 v[104:105], v142
	ds_load_b64 v[106:107], v143
	ds_load_b64 v[110:111], v173
	;; [unrolled: 6-line block ×3, first 2 shown]
	global_wb scope:SCOPE_SE
	s_wait_dscnt 0x0
	s_barrier_signal -1
	s_barrier_wait -1
	global_inv scope:SCOPE_SE
	ds_store_2addr_b64 v197, v[102:103], v[84:85] offset1:104
	ds_store_b64 v197, v[25:26] offset:1664
	ds_store_2addr_b64 v198, v[108:109], v[86:87] offset1:104
	ds_store_b64 v198, v[42:43] offset:1664
	ds_store_2addr_b64 v223, v[66:67], v[88:89] offset0:56 offset1:160
	ds_store_b64 v197, v[34:35] offset:4160
	ds_store_2addr_b64 v224, v[64:65], v[94:95] offset0:56 offset1:160
	ds_store_b64 v198, v[46:47] offset:4160
	ds_store_2addr_b64 v192, v[76:77], v[62:63] offset0:112 offset1:216
	ds_store_2addr_b64 v193, v[78:79], v[68:69] offset0:112 offset1:216
	ds_store_2addr_b64 v194, v[80:81], v[70:71] offset0:40 offset1:144
	ds_store_b64 v27, v[48:49] offset:6656
	ds_store_b64 v220, v[56:57] offset:9152
	ds_store_2addr_b64 v195, v[82:83], v[72:73] offset0:40 offset1:144
	ds_store_b64 v156, v[54:55] offset:6656
	ds_store_b64 v191, v[74:75] offset:9152
	global_wb scope:SCOPE_SE
	s_wait_dscnt 0x0
	s_barrier_signal -1
	s_barrier_wait -1
	global_inv scope:SCOPE_SE
	s_clause 0x3
	global_load_b128 v[42:45], v[92:93], off offset:4960
	global_load_b128 v[46:49], v[40:41], off offset:4960
	;; [unrolled: 1-line block ×4, first 2 shown]
	v_add_co_u32 v24, s0, s8, v38
	s_wait_alu 0xf1ff
	v_add_co_ci_u32_e64 v25, s0, s9, v39, s0
	s_clause 0x1
	global_load_b128 v[58:61], v[28:29], off offset:4960
	global_load_b128 v[62:65], v[24:25], off offset:4960
	ds_load_2addr_b64 v[66:69], v179 offset0:112 offset1:164
	ds_load_2addr_b64 v[70:73], v180 offset0:88 offset1:140
	ds_load_2addr_b64 v[74:77], v178 offset0:64 offset1:116
	ds_load_2addr_b64 v[78:81], v178 offset0:168 offset1:220
	ds_load_2addr_b64 v[82:85], v154 offset0:16 offset1:68
	ds_load_2addr_b64 v[86:89], v154 offset0:120 offset1:172
	s_wait_loadcnt_dscnt 0x505
	v_mul_f64_e32 v[26:27], v[66:67], v[44:45]
	s_wait_loadcnt 0x4
	v_mul_f64_e32 v[34:35], v[68:69], v[48:49]
	s_wait_loadcnt_dscnt 0x304
	v_mul_f64_e32 v[38:39], v[70:71], v[52:53]
	s_wait_loadcnt 0x2
	v_mul_f64_e32 v[94:95], v[72:73], v[56:57]
	s_wait_dscnt 0x2
	v_mul_f64_e32 v[120:121], v[78:79], v[44:45]
	v_mul_f64_e32 v[122:123], v[80:81], v[48:49]
	s_wait_dscnt 0x1
	v_mul_f64_e32 v[124:125], v[82:83], v[52:53]
	v_mul_f64_e32 v[126:127], v[84:85], v[56:57]
	;; [unrolled: 1-line block ×3, first 2 shown]
	s_wait_loadcnt 0x1
	v_mul_f64_e32 v[102:103], v[74:75], v[60:61]
	s_wait_loadcnt 0x0
	v_mul_f64_e32 v[108:109], v[76:77], v[64:65]
	s_wait_dscnt 0x0
	v_mul_f64_e32 v[128:129], v[86:87], v[60:61]
	v_mul_f64_e32 v[130:131], v[88:89], v[64:65]
	;; [unrolled: 1-line block ×13, first 2 shown]
	v_fma_f64 v[0:1], v[0:1], v[42:43], -v[26:27]
	v_fma_f64 v[2:3], v[2:3], v[46:47], -v[34:35]
	;; [unrolled: 1-line block ×8, first 2 shown]
	v_fma_f64 v[66:67], v[66:67], v[42:43], v[132:133]
	v_fma_f64 v[8:9], v[8:9], v[58:59], -v[102:103]
	v_fma_f64 v[10:11], v[10:11], v[62:63], -v[108:109]
	;; [unrolled: 1-line block ×4, first 2 shown]
	v_fma_f64 v[68:69], v[68:69], v[46:47], v[134:135]
	v_fma_f64 v[70:71], v[70:71], v[50:51], v[136:137]
	;; [unrolled: 1-line block ×11, first 2 shown]
	ds_load_b64 v[26:27], v197
	ds_load_b64 v[34:35], v198
	;; [unrolled: 1-line block ×12, first 2 shown]
	global_wb scope:SCOPE_SE
	s_wait_dscnt 0x0
	s_barrier_signal -1
	s_barrier_wait -1
	global_inv scope:SCOPE_SE
	v_add_f64_e64 v[0:1], v[30:31], -v[0:1]
	v_add_f64_e64 v[2:3], v[90:91], -v[2:3]
	;; [unrolled: 1-line block ×24, first 2 shown]
	v_fma_f64 v[30:31], v[30:31], 2.0, -v[0:1]
	v_fma_f64 v[72:73], v[90:91], 2.0, -v[2:3]
	;; [unrolled: 1-line block ×14, first 2 shown]
	ds_store_b64 v197, v[30:31]
	ds_store_b64 v197, v[0:1] offset:2496
	ds_store_b64 v198, v[72:73]
	ds_store_b64 v198, v[2:3] offset:2496
	;; [unrolled: 2-line block ×6, first 2 shown]
	ds_store_b64 v197, v[88:89] offset:4992
	ds_store_b64 v197, v[12:13] offset:7488
	;; [unrolled: 1-line block ×12, first 2 shown]
	v_fma_f64 v[104:105], v[78:79], 2.0, -v[48:49]
	v_fma_f64 v[106:107], v[80:81], 2.0, -v[50:51]
	;; [unrolled: 1-line block ×3, first 2 shown]
	global_wb scope:SCOPE_SE
	s_wait_dscnt 0x0
	s_barrier_signal -1
	s_barrier_wait -1
	global_inv scope:SCOPE_SE
	ds_load_2addr_b64 v[4:7], v179 offset0:112 offset1:164
	ds_load_2addr_b64 v[8:11], v180 offset0:88 offset1:140
	ds_load_b64 v[88:89], v197
	ds_load_b64 v[84:85], v198
	ds_load_b64 v[80:81], v199
	ds_load_b64 v[78:79], v140
	ds_load_2addr_b64 v[20:23], v178 offset0:64 offset1:116
	ds_load_2addr_b64 v[16:19], v178 offset0:168 offset1:220
	ds_load_b64 v[90:91], v141
	ds_load_b64 v[94:95], v142
	ds_load_b64 v[86:87], v143
	ds_load_b64 v[82:83], v173
	;; [unrolled: 6-line block ×3, first 2 shown]
	v_fma_f64 v[38:39], v[38:39], 2.0, -v[70:71]
	v_fma_f64 v[54:55], v[54:55], 2.0, -v[102:103]
	;; [unrolled: 1-line block ×7, first 2 shown]
	global_wb scope:SCOPE_SE
	s_wait_dscnt 0x0
	s_barrier_signal -1
	s_barrier_wait -1
	global_inv scope:SCOPE_SE
	ds_store_b64 v197, v[26:27]
	ds_store_b64 v197, v[66:67] offset:2496
	ds_store_b64 v198, v[34:35]
	ds_store_b64 v198, v[68:69] offset:2496
	;; [unrolled: 2-line block ×6, first 2 shown]
	ds_store_b64 v197, v[60:61] offset:4992
	ds_store_b64 v197, v[42:43] offset:7488
	;; [unrolled: 1-line block ×12, first 2 shown]
	global_wb scope:SCOPE_SE
	s_wait_dscnt 0x0
	s_barrier_signal -1
	s_barrier_wait -1
	global_inv scope:SCOPE_SE
	s_and_saveexec_b32 s0, vcc_lo
	s_cbranch_execz .LBB0_23
; %bb.22:
	v_dual_mov_b32 v159, v145 :: v_dual_mov_b32 v154, v145
	global_load_b128 v[24:27], v[24:25], off offset:9952
	v_mov_b32_e32 v156, v145
	v_mov_b32_e32 v226, v145
	v_lshlrev_b64_e32 v[30:31], 4, v[158:159]
	v_lshlrev_b64_e32 v[34:35], 4, v[153:154]
	v_dual_mov_b32 v158, v145 :: v_dual_mov_b32 v151, v145
	v_add_nc_u32_e32 v153, 52, v144
	v_lshrrev_b32_e32 v152, 4, v144
	v_add_co_u32 v44, vcc_lo, s8, v30
	s_wait_alu 0xfffd
	v_add_co_ci_u32_e32 v45, vcc_lo, s9, v31, vcc_lo
	v_add_co_u32 v46, vcc_lo, s8, v34
	v_lshlrev_b64_e32 v[48:49], 4, v[150:151]
	s_wait_alu 0xfffd
	v_add_co_ci_u32_e32 v47, vcc_lo, s9, v35, vcc_lo
	s_clause 0x6
	global_load_b128 v[28:31], v[28:29], off offset:9952
	global_load_b128 v[32:35], v[32:33], off offset:9952
	;; [unrolled: 1-line block ×7, first 2 shown]
	v_add_co_u32 v48, vcc_lo, s8, v48
	s_wait_alu 0xfffd
	v_add_co_ci_u32_e32 v49, vcc_lo, s9, v49, vcc_lo
	v_lshlrev_b64_e32 v[44:45], 4, v[157:158]
	v_lshlrev_b64_e32 v[46:47], 4, v[155:156]
	v_add_nc_u32_e32 v155, 0x9c, v144
	global_load_b128 v[64:67], v[48:49], off offset:9952
	v_lshlrev_b64_e32 v[48:49], 4, v[225:226]
	v_add_nc_u32_e32 v154, 0x68, v144
	v_add_co_u32 v44, vcc_lo, s8, v44
	s_wait_alu 0xfffd
	v_add_co_ci_u32_e32 v45, vcc_lo, s9, v45, vcc_lo
	v_add_co_u32 v46, vcc_lo, s8, v46
	s_wait_alu 0xfffd
	v_add_co_ci_u32_e32 v47, vcc_lo, s9, v47, vcc_lo
	;; [unrolled: 3-line block ×3, first 2 shown]
	s_clause 0x2
	global_load_b128 v[52:55], v[44:45], off offset:9952
	global_load_b128 v[48:51], v[46:47], off offset:9952
	global_load_b128 v[44:47], v[92:93], off offset:9952
	v_mul_lo_u32 v150, s3, v148
	v_mul_lo_u32 v151, s2, v149
	v_mad_co_u64_u32 v[148:149], null, s2, v148, 0
	v_add_nc_u32_e32 v157, 0x104, v144
	v_add_nc_u32_e32 v159, 0x16c, v144
	v_lshlrev_b64_e32 v[145:146], 4, v[146:147]
	v_add_nc_u32_e32 v156, 0xd0, v144
	v_add_nc_u32_e32 v158, 0x138, v144
	;; [unrolled: 1-line block ×5, first 2 shown]
	v_mul_hi_u32 v147, 0x1a41a41b, v152
	v_lshrrev_b32_e32 v152, 4, v153
	v_lshrrev_b32_e32 v163, 4, v154
	v_lshrrev_b32_e32 v164, 4, v155
	v_lshrrev_b32_e32 v166, 4, v157
	v_lshrrev_b32_e32 v168, 4, v159
	v_lshrrev_b32_e32 v165, 4, v156
	v_lshrrev_b32_e32 v167, 4, v158
	v_lshrrev_b32_e32 v169, 4, v160
	v_lshrrev_b32_e32 v170, 4, v161
	v_lshrrev_b32_e32 v171, 4, v162
	v_add3_u32 v149, v149, v151, v150
	v_mul_hi_u32 v150, 0x1a41a41b, v152
	v_mul_hi_u32 v151, 0x1a41a41b, v163
	;; [unrolled: 1-line block ×5, first 2 shown]
	v_lshrrev_b32_e32 v168, 2, v147
	v_mul_hi_u32 v163, 0x1a41a41b, v165
	v_mul_hi_u32 v165, 0x1a41a41b, v167
	;; [unrolled: 1-line block ×5, first 2 shown]
	v_lshlrev_b64_e32 v[147:148], 4, v[148:149]
	v_add_nc_u32_e32 v208, 0x23c, v144
	v_mul_u32_u24_e32 v149, 0x270, v168
	v_lshrrev_b32_e32 v150, 2, v150
	v_lshrrev_b32_e32 v151, 2, v151
	;; [unrolled: 1-line block ×3, first 2 shown]
	v_add_co_u32 v147, vcc_lo, s6, v147
	v_lshrrev_b32_e32 v172, 4, v208
	v_lshrrev_b32_e32 v163, 2, v163
	;; [unrolled: 1-line block ×8, first 2 shown]
	s_wait_alu 0xfffd
	v_add_co_ci_u32_e32 v148, vcc_lo, s7, v148, vcc_lo
	v_sub_nc_u32_e32 v169, v144, v149
	v_mul_u32_u24_e32 v149, 0x270, v150
	v_mul_u32_u24_e32 v170, 0x270, v151
	;; [unrolled: 1-line block ×3, first 2 shown]
	v_add_co_u32 v211, vcc_lo, v147, v145
	ds_load_b64 v[98:99], v177
	ds_load_b64 v[100:101], v176
	ds_load_b64 v[92:93], v175
	ds_load_b64 v[104:105], v174
	ds_load_b64 v[102:103], v173
	v_mul_hi_u32 v209, 0x1a41a41b, v172
	v_mul_u32_u24_e32 v172, 0x270, v163
	v_mul_u32_u24_e32 v173, 0x270, v164
	;; [unrolled: 1-line block ×6, first 2 shown]
	s_wait_alu 0xfffd
	v_add_co_ci_u32_e32 v212, vcc_lo, v148, v146, vcc_lo
	v_sub_nc_u32_e32 v148, v153, v149
	v_sub_nc_u32_e32 v149, v154, v170
	;; [unrolled: 1-line block ×3, first 2 shown]
	v_add_nc_u32_e32 v185, 0x270, v169
	v_sub_nc_u32_e32 v154, v156, v172
	v_sub_nc_u32_e32 v155, v157, v173
	;; [unrolled: 1-line block ×6, first 2 shown]
	v_mad_u32_u24 v187, 0x4e0, v150, v148
	v_mad_u32_u24 v188, 0x4e0, v151, v149
	;; [unrolled: 1-line block ×3, first 2 shown]
	v_mad_co_u64_u32 v[144:145], null, s16, v169, 0
	v_mad_co_u64_u32 v[146:147], null, s16, v185, 0
	v_add_nc_u32_e32 v124, 0x2000, v197
	ds_load_b64 v[106:107], v143
	ds_load_b64 v[112:113], v142
	;; [unrolled: 1-line block ×7, first 2 shown]
	v_mul_u32_u24_e32 v178, 0x270, v210
	v_mad_u32_u24 v190, 0x4e0, v163, v154
	v_mad_u32_u24 v191, 0x4e0, v164, v155
	;; [unrolled: 1-line block ×6, first 2 shown]
	v_mad_co_u64_u32 v[148:149], null, s16, v187, 0
	v_add_nc_u32_e32 v132, 0x1800, v197
	v_mad_co_u64_u32 v[150:151], null, s16, v188, 0
	v_add_nc_u32_e32 v136, 0x1400, v197
	;; [unrolled: 2-line block ×3, first 2 shown]
	v_add_nc_u32_e32 v197, 0x270, v188
	v_sub_nc_u32_e32 v213, v162, v178
	v_mad_co_u64_u32 v[154:155], null, s16, v190, 0
	v_mad_co_u64_u32 v[156:157], null, s16, v191, 0
	;; [unrolled: 1-line block ×8, first 2 shown]
	v_dual_mov_b32 v145, v147 :: v_dual_add_nc_u32 v198, 0x270, v189
	v_mov_b32_e32 v147, v149
	v_mov_b32_e32 v149, v151
	v_add_nc_u32_e32 v199, 0x270, v190
	v_add_nc_u32_e32 v196, 0x270, v187
	v_mad_co_u64_u32 v[185:186], null, s17, v185, v[145:146]
	v_mov_b32_e32 v145, v166
	v_mov_b32_e32 v151, v153
	;; [unrolled: 1-line block ×8, first 2 shown]
	v_mad_co_u64_u32 v[165:166], null, s17, v187, v[147:148]
	v_mad_co_u64_u32 v[186:187], null, s17, v188, v[149:150]
	v_mov_b32_e32 v149, v170
	v_mad_co_u64_u32 v[171:172], null, s16, v198, 0
	v_mad_co_u64_u32 v[173:174], null, s16, v199, 0
	v_add_nc_u32_e32 v200, 0x270, v191
	v_add_nc_u32_e32 v201, 0x270, v192
	v_mad_co_u64_u32 v[167:168], null, s16, v196, 0
	v_add_nc_u32_e32 v202, 0x270, v193
	v_mad_co_u64_u32 v[187:188], null, s17, v189, v[151:152]
	v_mov_b32_e32 v151, v172
	v_mad_co_u64_u32 v[175:176], null, s16, v200, 0
	v_mad_co_u64_u32 v[177:178], null, s16, v201, 0
	;; [unrolled: 1-line block ×3, first 2 shown]
	v_mov_b32_e32 v153, v174
	v_mad_co_u64_u32 v[179:180], null, s16, v202, 0
	v_mov_b32_e32 v166, v168
	v_mad_co_u64_u32 v[189:190], null, s17, v191, v[155:156]
	v_dual_mov_b32 v155, v176 :: v_dual_add_nc_u32 v214, 0x270, v195
	v_mad_co_u64_u32 v[190:191], null, s17, v192, v[157:158]
	v_mad_co_u64_u32 v[191:192], null, s17, v193, v[159:160]
	;; [unrolled: 1-line block ×3, first 2 shown]
	v_add_nc_u32_e32 v203, 0x270, v194
	v_mad_co_u64_u32 v[193:194], null, s17, v195, v[163:164]
	v_mov_b32_e32 v157, v178
	v_mad_co_u64_u32 v[194:195], null, s17, v196, v[166:167]
	v_mad_co_u64_u32 v[183:184], null, s16, v214, 0
	v_mov_b32_e32 v159, v180
	v_mad_co_u64_u32 v[195:196], null, s17, v197, v[149:150]
	v_mad_co_u64_u32 v[196:197], null, s17, v198, v[151:152]
	;; [unrolled: 1-line block ×6, first 2 shown]
	ds_load_2addr_b64 v[120:123], v124 offset0:120 offset1:172
	ds_load_2addr_b64 v[124:127], v124 offset0:16 offset1:68
	ds_load_2addr_b64 v[128:131], v132 offset0:168 offset1:220
	ds_load_2addr_b64 v[132:135], v132 offset0:64 offset1:116
	ds_load_2addr_b64 v[136:139], v136 offset0:88 offset1:140
	ds_load_2addr_b64 v[140:143], v140 offset0:112 offset1:164
	v_mov_b32_e32 v168, v194
	v_mov_b32_e32 v170, v195
	v_mov_b32_e32 v172, v196
	v_mov_b32_e32 v174, v197
	v_mov_b32_e32 v176, v198
	v_mov_b32_e32 v180, v200
	v_mad_co_u64_u32 v[181:182], null, s16, v203, 0
	v_dual_mov_b32 v178, v199 :: v_dual_mov_b32 v147, v185
	v_mov_b32_e32 v149, v165
	v_mov_b32_e32 v151, v186
	;; [unrolled: 1-line block ×3, first 2 shown]
	v_lshlrev_b64_e32 v[165:166], 4, v[167:168]
	v_mov_b32_e32 v161, v182
	v_lshlrev_b64_e32 v[167:168], 4, v[169:170]
	v_lshlrev_b64_e32 v[169:170], 4, v[171:172]
	;; [unrolled: 1-line block ×4, first 2 shown]
	v_mad_co_u64_u32 v[201:202], null, s17, v203, v[161:162]
	v_mov_b32_e32 v161, v191
	v_lshlrev_b64_e32 v[175:176], 4, v[177:178]
	v_lshlrev_b64_e32 v[177:178], 4, v[179:180]
	v_mov_b32_e32 v153, v187
	v_mov_b32_e32 v155, v188
	v_dual_mov_b32 v157, v189 :: v_dual_mov_b32 v182, v201
	v_mov_b32_e32 v159, v190
	v_lshlrev_b64_e32 v[144:145], 4, v[144:145]
	v_lshlrev_b64_e32 v[146:147], 4, v[146:147]
	;; [unrolled: 1-line block ×6, first 2 shown]
	v_add_co_u32 v144, vcc_lo, v211, v144
	s_wait_alu 0xfffd
	v_add_co_ci_u32_e32 v145, vcc_lo, v212, v145, vcc_lo
	v_add_co_u32 v146, vcc_lo, v211, v146
	s_wait_alu 0xfffd
	v_add_co_ci_u32_e32 v147, vcc_lo, v212, v147, vcc_lo
	;; [unrolled: 3-line block ×3, first 2 shown]
	v_lshlrev_b64_e32 v[154:155], 4, v[154:155]
	v_add_co_u32 v150, vcc_lo, v211, v150
	s_wait_alu 0xfffd
	v_add_co_ci_u32_e32 v151, vcc_lo, v212, v151, vcc_lo
	v_lshlrev_b64_e32 v[156:157], 4, v[156:157]
	v_add_co_u32 v152, vcc_lo, v211, v152
	s_wait_alu 0xfffd
	v_add_co_ci_u32_e32 v153, vcc_lo, v212, v153, vcc_lo
	;; [unrolled: 4-line block ×3, first 2 shown]
	v_lshlrev_b64_e32 v[160:161], 4, v[160:161]
	v_lshlrev_b64_e32 v[162:163], 4, v[162:163]
	s_wait_loadcnt_dscnt 0xb02
	v_mul_f64_e32 v[181:182], v[24:25], v[134:135]
	v_mul_f64_e32 v[134:135], v[26:27], v[134:135]
	s_wait_loadcnt_dscnt 0x901
	v_mul_f64_e32 v[187:188], v[32:33], v[138:139]
	s_wait_loadcnt 0x8
	v_mul_f64_e32 v[189:190], v[36:37], v[136:137]
	v_mul_f64_e32 v[185:186], v[28:29], v[132:133]
	s_wait_loadcnt_dscnt 0x600
	v_mul_f64_e32 v[191:192], v[68:69], v[140:141]
	v_mul_f64_e32 v[140:141], v[70:71], v[140:141]
	;; [unrolled: 1-line block ×7, first 2 shown]
	s_wait_loadcnt 0x5
	v_mul_f64_e32 v[196:197], v[56:57], v[124:125]
	s_wait_loadcnt 0x4
	v_mul_f64_e32 v[198:199], v[60:61], v[130:131]
	v_mul_f64_e32 v[130:131], v[62:63], v[130:131]
	s_wait_loadcnt 0x3
	v_mul_f64_e32 v[200:201], v[64:65], v[128:129]
	v_mul_f64_e32 v[128:129], v[66:67], v[128:129]
	;; [unrolled: 1-line block ×3, first 2 shown]
	v_fma_f64 v[26:27], v[22:23], v[26:27], v[181:182]
	v_fma_f64 v[22:23], v[22:23], v[24:25], -v[134:135]
	s_wait_loadcnt 0x2
	v_mul_f64_e32 v[202:203], v[52:53], v[122:123]
	v_mul_f64_e32 v[122:123], v[54:55], v[122:123]
	s_wait_loadcnt 0x0
	v_mul_f64_e32 v[206:207], v[44:45], v[126:127]
	v_mul_f64_e32 v[126:127], v[46:47], v[126:127]
	;; [unrolled: 1-line block ×4, first 2 shown]
	v_fma_f64 v[38:39], v[8:9], v[38:39], v[189:190]
	v_fma_f64 v[24:25], v[20:21], v[30:31], v[185:186]
	;; [unrolled: 1-line block ×3, first 2 shown]
	v_fma_f64 v[4:5], v[4:5], v[68:69], -v[140:141]
	v_fma_f64 v[28:29], v[20:21], v[28:29], -v[132:133]
	v_fma_f64 v[20:21], v[10:11], v[34:35], v[187:188]
	v_fma_f64 v[34:35], v[6:7], v[42:43], v[194:195]
	v_fma_f64 v[40:41], v[6:7], v[40:41], -v[142:143]
	v_fma_f64 v[36:37], v[8:9], v[36:37], -v[136:137]
	;; [unrolled: 1-line block ×3, first 2 shown]
	v_fma_f64 v[42:43], v[0:1], v[58:59], v[196:197]
	v_fma_f64 v[58:59], v[18:19], v[62:63], v[198:199]
	;; [unrolled: 1-line block ×3, first 2 shown]
	v_fma_f64 v[64:65], v[16:17], v[64:65], -v[128:129]
	v_fma_f64 v[60:61], v[18:19], v[60:61], -v[130:131]
	;; [unrolled: 1-line block ×3, first 2 shown]
	v_add_co_u32 v124, vcc_lo, v211, v156
	s_wait_alu 0xfffd
	v_add_co_ci_u32_e32 v125, vcc_lo, v212, v157, vcc_lo
	v_add_co_u32 v128, vcc_lo, v211, v158
	v_add_f64_e64 v[0:1], v[94:95], -v[22:23]
	s_wait_alu 0xfffd
	v_add_co_ci_u32_e32 v129, vcc_lo, v212, v159, vcc_lo
	v_add_co_u32 v130, vcc_lo, v211, v160
	v_fma_f64 v[54:55], v[14:15], v[54:55], v[202:203]
	v_fma_f64 v[46:47], v[2:3], v[46:47], v[206:207]
	v_fma_f64 v[44:45], v[2:3], v[44:45], -v[126:127]
	v_fma_f64 v[52:53], v[14:15], v[52:53], -v[122:123]
	v_fma_f64 v[50:51], v[12:13], v[50:51], v[204:205]
	v_fma_f64 v[48:49], v[12:13], v[48:49], -v[120:121]
	v_add_f64_e64 v[2:3], v[112:113], -v[26:27]
	s_wait_alu 0xfffd
	v_add_co_ci_u32_e32 v131, vcc_lo, v212, v161, vcc_lo
	v_add_co_u32 v132, vcc_lo, v211, v162
	v_add_f64_e64 v[18:19], v[114:115], -v[38:39]
	v_add_f64_e64 v[6:7], v[108:109], -v[24:25]
	;; [unrolled: 1-line block ×16, first 2 shown]
	s_wait_alu 0xfffd
	v_add_co_ci_u32_e32 v133, vcc_lo, v212, v163, vcc_lo
	v_add_co_u32 v120, vcc_lo, v211, v165
	s_wait_alu 0xfffd
	v_add_co_ci_u32_e32 v121, vcc_lo, v212, v166, vcc_lo
	v_add_co_u32 v122, vcc_lo, v211, v167
	;; [unrolled: 3-line block ×3, first 2 shown]
	v_add_f64_e64 v[46:47], v[92:93], -v[46:47]
	v_add_f64_e64 v[44:45], v[72:73], -v[44:45]
	;; [unrolled: 1-line block ×6, first 2 shown]
	v_fma_f64 v[50:51], v[112:113], 2.0, -v[2:3]
	v_fma_f64 v[48:49], v[94:95], 2.0, -v[0:1]
	s_wait_alu 0xfffd
	v_add_co_ci_u32_e32 v127, vcc_lo, v212, v170, vcc_lo
	v_fma_f64 v[62:63], v[114:115], 2.0, -v[18:19]
	v_fma_f64 v[70:71], v[108:109], 2.0, -v[6:7]
	;; [unrolled: 1-line block ×10, first 2 shown]
	v_add_co_u32 v134, vcc_lo, v211, v171
	v_fma_f64 v[88:89], v[106:107], 2.0, -v[34:35]
	v_fma_f64 v[86:87], v[86:87], 2.0, -v[32:33]
	;; [unrolled: 1-line block ×6, first 2 shown]
	s_wait_alu 0xfffd
	v_add_co_ci_u32_e32 v135, vcc_lo, v212, v172, vcc_lo
	v_add_co_u32 v102, vcc_lo, v211, v173
	s_wait_alu 0xfffd
	v_add_co_ci_u32_e32 v103, vcc_lo, v212, v174, vcc_lo
	v_add_co_u32 v104, vcc_lo, v211, v175
	s_wait_alu 0xfffd
	v_add_co_ci_u32_e32 v105, vcc_lo, v212, v176, vcc_lo
	v_fma_f64 v[92:93], v[92:93], 2.0, -v[46:47]
	v_fma_f64 v[90:91], v[72:73], 2.0, -v[44:45]
	v_add_co_u32 v106, vcc_lo, v211, v177
	s_wait_alu 0xfffd
	v_add_co_ci_u32_e32 v107, vcc_lo, v212, v178, vcc_lo
	v_mov_b32_e32 v165, v193
	s_clause 0xf
	global_store_b128 v[144:145], v[52:55], off
	global_store_b128 v[146:147], v[8:11], off
	;; [unrolled: 1-line block ×16, first 2 shown]
	v_lshrrev_b32_e32 v10, 2, v209
	v_mad_u32_u24 v9, 0x4e0, v210, v213
	v_mov_b32_e32 v2, v184
	v_lshlrev_b64_e32 v[0:1], 4, v[164:165]
	v_add_co_u32 v108, vcc_lo, v211, v179
	v_mul_u32_u24_e32 v7, 0x270, v10
	v_add_nc_u32_e32 v11, 0x270, v9
	v_mad_co_u64_u32 v[3:4], null, s16, v9, 0
	s_wait_alu 0xfffd
	v_add_co_ci_u32_e32 v109, vcc_lo, v212, v180, vcc_lo
	v_sub_nc_u32_e32 v12, v208, v7
	v_mad_co_u64_u32 v[5:6], null, s16, v11, 0
	v_add_co_u32 v0, vcc_lo, v211, v0
	v_mad_co_u64_u32 v[7:8], null, s17, v214, v[2:3]
	s_delay_alu instid0(VALU_DEP_4) | instskip(SKIP_3) | instid1(VALU_DEP_4)
	v_mad_u32_u24 v14, 0x4e0, v10, v12
	v_fma_f64 v[94:95], v[76:77], 2.0, -v[36:37]
	v_mad_co_u64_u32 v[8:9], null, s17, v9, v[4:5]
	v_fma_f64 v[76:77], v[100:101], 2.0, -v[42:43]
	v_mad_co_u64_u32 v[9:10], null, s16, v14, 0
	v_fma_f64 v[74:75], v[74:75], 2.0, -v[40:41]
	s_wait_alu 0xfffd
	v_add_co_ci_u32_e32 v1, vcc_lo, v212, v1, vcc_lo
	v_mov_b32_e32 v2, v6
	v_mov_b32_e32 v184, v7
	v_fma_f64 v[96:97], v[98:99], 2.0, -v[38:39]
	v_add_nc_u32_e32 v15, 0x270, v14
	s_clause 0x1
	global_store_b128 v[132:133], v[78:81], off
	global_store_b128 v[108:109], v[24:27], off
	v_mad_co_u64_u32 v[11:12], null, s17, v11, v[2:3]
	global_store_b128 v[0:1], v[90:93], off
	v_lshlrev_b64_e32 v[1:2], 4, v[183:184]
	v_mad_co_u64_u32 v[12:13], null, s16, v15, 0
	v_mov_b32_e32 v0, v10
	v_mov_b32_e32 v4, v8
	;; [unrolled: 1-line block ×3, first 2 shown]
	s_delay_alu instid0(VALU_DEP_3)
	v_mad_co_u64_u32 v[7:8], null, s17, v14, v[0:1]
	v_mov_b32_e32 v0, v13
	v_add_co_u32 v1, vcc_lo, v211, v1
	v_lshlrev_b64_e32 v[3:4], 4, v[3:4]
	v_lshlrev_b64_e32 v[5:6], 4, v[5:6]
	s_wait_alu 0xfffd
	v_add_co_ci_u32_e32 v2, vcc_lo, v212, v2, vcc_lo
	v_mov_b32_e32 v10, v7
	v_mad_co_u64_u32 v[13:14], null, s17, v15, v[0:1]
	v_add_co_u32 v3, vcc_lo, v211, v3
	s_delay_alu instid0(VALU_DEP_3)
	v_lshlrev_b64_e32 v[7:8], 4, v[9:10]
	s_wait_alu 0xfffd
	v_add_co_ci_u32_e32 v4, vcc_lo, v212, v4, vcc_lo
	v_add_co_u32 v5, vcc_lo, v211, v5
	v_lshlrev_b64_e32 v[9:10], 4, v[12:13]
	s_wait_alu 0xfffd
	v_add_co_ci_u32_e32 v6, vcc_lo, v212, v6, vcc_lo
	v_add_co_u32 v7, vcc_lo, v211, v7
	s_wait_alu 0xfffd
	v_add_co_ci_u32_e32 v8, vcc_lo, v212, v8, vcc_lo
	v_add_co_u32 v9, vcc_lo, v211, v9
	s_wait_alu 0xfffd
	v_add_co_ci_u32_e32 v10, vcc_lo, v212, v10, vcc_lo
	s_clause 0x4
	global_store_b128 v[1:2], v[44:47], off
	global_store_b128 v[3:4], v[74:77], off
	;; [unrolled: 1-line block ×5, first 2 shown]
.LBB0_23:
	s_nop 0
	s_sendmsg sendmsg(MSG_DEALLOC_VGPRS)
	s_endpgm
	.section	.rodata,"a",@progbits
	.p2align	6, 0x0
	.amdhsa_kernel fft_rtc_fwd_len1248_factors_2_2_13_2_3_2_2_wgs_52_tpt_52_halfLds_dp_op_CI_CI_sbrr_dirReg
		.amdhsa_group_segment_fixed_size 0
		.amdhsa_private_segment_fixed_size 40
		.amdhsa_kernarg_size 104
		.amdhsa_user_sgpr_count 2
		.amdhsa_user_sgpr_dispatch_ptr 0
		.amdhsa_user_sgpr_queue_ptr 0
		.amdhsa_user_sgpr_kernarg_segment_ptr 1
		.amdhsa_user_sgpr_dispatch_id 0
		.amdhsa_user_sgpr_private_segment_size 0
		.amdhsa_wavefront_size32 1
		.amdhsa_uses_dynamic_stack 0
		.amdhsa_enable_private_segment 1
		.amdhsa_system_sgpr_workgroup_id_x 1
		.amdhsa_system_sgpr_workgroup_id_y 0
		.amdhsa_system_sgpr_workgroup_id_z 0
		.amdhsa_system_sgpr_workgroup_info 0
		.amdhsa_system_vgpr_workitem_id 0
		.amdhsa_next_free_vgpr 256
		.amdhsa_next_free_sgpr 48
		.amdhsa_reserve_vcc 1
		.amdhsa_float_round_mode_32 0
		.amdhsa_float_round_mode_16_64 0
		.amdhsa_float_denorm_mode_32 3
		.amdhsa_float_denorm_mode_16_64 3
		.amdhsa_fp16_overflow 0
		.amdhsa_workgroup_processor_mode 1
		.amdhsa_memory_ordered 1
		.amdhsa_forward_progress 0
		.amdhsa_round_robin_scheduling 0
		.amdhsa_exception_fp_ieee_invalid_op 0
		.amdhsa_exception_fp_denorm_src 0
		.amdhsa_exception_fp_ieee_div_zero 0
		.amdhsa_exception_fp_ieee_overflow 0
		.amdhsa_exception_fp_ieee_underflow 0
		.amdhsa_exception_fp_ieee_inexact 0
		.amdhsa_exception_int_div_zero 0
	.end_amdhsa_kernel
	.text
.Lfunc_end0:
	.size	fft_rtc_fwd_len1248_factors_2_2_13_2_3_2_2_wgs_52_tpt_52_halfLds_dp_op_CI_CI_sbrr_dirReg, .Lfunc_end0-fft_rtc_fwd_len1248_factors_2_2_13_2_3_2_2_wgs_52_tpt_52_halfLds_dp_op_CI_CI_sbrr_dirReg
                                        ; -- End function
	.section	.AMDGPU.csdata,"",@progbits
; Kernel info:
; codeLenInByte = 22480
; NumSgprs: 50
; NumVgprs: 256
; ScratchSize: 40
; MemoryBound: 1
; FloatMode: 240
; IeeeMode: 1
; LDSByteSize: 0 bytes/workgroup (compile time only)
; SGPRBlocks: 6
; VGPRBlocks: 31
; NumSGPRsForWavesPerEU: 50
; NumVGPRsForWavesPerEU: 256
; Occupancy: 5
; WaveLimiterHint : 1
; COMPUTE_PGM_RSRC2:SCRATCH_EN: 1
; COMPUTE_PGM_RSRC2:USER_SGPR: 2
; COMPUTE_PGM_RSRC2:TRAP_HANDLER: 0
; COMPUTE_PGM_RSRC2:TGID_X_EN: 1
; COMPUTE_PGM_RSRC2:TGID_Y_EN: 0
; COMPUTE_PGM_RSRC2:TGID_Z_EN: 0
; COMPUTE_PGM_RSRC2:TIDIG_COMP_CNT: 0
	.text
	.p2alignl 7, 3214868480
	.fill 96, 4, 3214868480
	.type	__hip_cuid_f0620edba2ccad25,@object ; @__hip_cuid_f0620edba2ccad25
	.section	.bss,"aw",@nobits
	.globl	__hip_cuid_f0620edba2ccad25
__hip_cuid_f0620edba2ccad25:
	.byte	0                               ; 0x0
	.size	__hip_cuid_f0620edba2ccad25, 1

	.ident	"AMD clang version 19.0.0git (https://github.com/RadeonOpenCompute/llvm-project roc-6.4.0 25133 c7fe45cf4b819c5991fe208aaa96edf142730f1d)"
	.section	".note.GNU-stack","",@progbits
	.addrsig
	.addrsig_sym __hip_cuid_f0620edba2ccad25
	.amdgpu_metadata
---
amdhsa.kernels:
  - .args:
      - .actual_access:  read_only
        .address_space:  global
        .offset:         0
        .size:           8
        .value_kind:     global_buffer
      - .offset:         8
        .size:           8
        .value_kind:     by_value
      - .actual_access:  read_only
        .address_space:  global
        .offset:         16
        .size:           8
        .value_kind:     global_buffer
      - .actual_access:  read_only
        .address_space:  global
        .offset:         24
        .size:           8
        .value_kind:     global_buffer
      - .actual_access:  read_only
        .address_space:  global
        .offset:         32
        .size:           8
        .value_kind:     global_buffer
      - .offset:         40
        .size:           8
        .value_kind:     by_value
      - .actual_access:  read_only
        .address_space:  global
        .offset:         48
        .size:           8
        .value_kind:     global_buffer
      - .actual_access:  read_only
        .address_space:  global
        .offset:         56
        .size:           8
        .value_kind:     global_buffer
      - .offset:         64
        .size:           4
        .value_kind:     by_value
      - .actual_access:  read_only
        .address_space:  global
        .offset:         72
        .size:           8
        .value_kind:     global_buffer
      - .actual_access:  read_only
        .address_space:  global
        .offset:         80
        .size:           8
        .value_kind:     global_buffer
      - .actual_access:  read_only
        .address_space:  global
        .offset:         88
        .size:           8
        .value_kind:     global_buffer
      - .actual_access:  write_only
        .address_space:  global
        .offset:         96
        .size:           8
        .value_kind:     global_buffer
    .group_segment_fixed_size: 0
    .kernarg_segment_align: 8
    .kernarg_segment_size: 104
    .language:       OpenCL C
    .language_version:
      - 2
      - 0
    .max_flat_workgroup_size: 52
    .name:           fft_rtc_fwd_len1248_factors_2_2_13_2_3_2_2_wgs_52_tpt_52_halfLds_dp_op_CI_CI_sbrr_dirReg
    .private_segment_fixed_size: 40
    .sgpr_count:     50
    .sgpr_spill_count: 0
    .symbol:         fft_rtc_fwd_len1248_factors_2_2_13_2_3_2_2_wgs_52_tpt_52_halfLds_dp_op_CI_CI_sbrr_dirReg.kd
    .uniform_work_group_size: 1
    .uses_dynamic_stack: false
    .vgpr_count:     256
    .vgpr_spill_count: 9
    .wavefront_size: 32
    .workgroup_processor_mode: 1
amdhsa.target:   amdgcn-amd-amdhsa--gfx1201
amdhsa.version:
  - 1
  - 2
...

	.end_amdgpu_metadata
